;; amdgpu-corpus repo=ROCm/rocFFT kind=compiled arch=gfx1030 opt=O3
	.text
	.amdgcn_target "amdgcn-amd-amdhsa--gfx1030"
	.amdhsa_code_object_version 6
	.protected	bluestein_single_back_len1377_dim1_dp_op_CI_CI ; -- Begin function bluestein_single_back_len1377_dim1_dp_op_CI_CI
	.globl	bluestein_single_back_len1377_dim1_dp_op_CI_CI
	.p2align	8
	.type	bluestein_single_back_len1377_dim1_dp_op_CI_CI,@function
bluestein_single_back_len1377_dim1_dp_op_CI_CI: ; @bluestein_single_back_len1377_dim1_dp_op_CI_CI
; %bb.0:
	s_load_dwordx4 s[8:11], s[4:5], 0x28
	v_mul_u32_u24_e32 v1, 0x506, v0
	s_mov_b64 s[62:63], s[2:3]
	s_mov_b64 s[60:61], s[0:1]
	v_mov_b32_e32 v6, 0
	s_add_u32 s60, s60, s7
	v_lshrrev_b32_e32 v1, 16, v1
	s_addc_u32 s61, s61, 0
	s_mov_b32 s0, exec_lo
	v_add_nc_u32_e32 v5, s6, v1
	s_waitcnt lgkmcnt(0)
	v_cmpx_gt_u64_e64 s[8:9], v[5:6]
	s_cbranch_execz .LBB0_15
; %bb.1:
	s_clause 0x1
	s_load_dwordx4 s[0:3], s[4:5], 0x18
	s_load_dwordx2 s[16:17], s[4:5], 0x0
	v_mul_lo_u16 v1, v1, 51
	v_mov_b32_e32 v6, v5
	v_sub_nc_u16 v2, v0, v1
	v_and_b32_e32 v7, 0xffff, v2
	v_lshlrev_b32_e32 v238, 4, v7
	s_waitcnt lgkmcnt(0)
	s_load_dwordx4 s[12:15], s[0:1], 0x0
	s_clause 0x1
	global_load_dwordx4 v[99:102], v238, s[16:17]
	global_load_dwordx4 v[95:98], v238, s[16:17] offset:1296
	v_add_co_u32 v71, s0, s16, v238
	v_add_co_ci_u32_e64 v72, null, s17, 0, s0
	v_add_co_u32 v19, vcc_lo, 0x800, v71
	v_add_co_ci_u32_e32 v20, vcc_lo, 0, v72, vcc_lo
	v_add_co_u32 v17, vcc_lo, 0x1000, v71
	v_add_co_ci_u32_e32 v18, vcc_lo, 0, v72, vcc_lo
	;; [unrolled: 2-line block ×3, first 2 shown]
	s_waitcnt lgkmcnt(0)
	v_mad_u64_u32 v[3:4], null, s12, v7, 0
	buffer_store_dword v6, off, s[60:63], 0 offset:444 ; 4-byte Folded Spill
	buffer_store_dword v7, off, s[60:63], 0 offset:448 ; 4-byte Folded Spill
	global_load_dwordx4 v[159:162], v[19:20], off offset:544
	v_add_co_u32 v11, vcc_lo, 0x2000, v71
	v_add_co_ci_u32_e32 v12, vcc_lo, 0, v72, vcc_lo
	v_add_co_u32 v13, vcc_lo, 0x2800, v71
	v_add_co_ci_u32_e32 v14, vcc_lo, 0, v72, vcc_lo
	;; [unrolled: 2-line block ×3, first 2 shown]
	v_mad_u64_u32 v[0:1], null, s14, v5, 0
	v_add_co_u32 v59, vcc_lo, 0x3800, v71
	v_add_co_ci_u32_e32 v60, vcc_lo, 0, v72, vcc_lo
	v_add_co_u32 v65, vcc_lo, 0x4000, v71
	v_mad_u64_u32 v[5:6], null, s15, v5, v[1:2]
	v_add_co_ci_u32_e32 v66, vcc_lo, 0, v72, vcc_lo
	s_mul_i32 s1, s13, 0x51
	s_mul_hi_u32 s6, s12, 0x51
	s_mul_i32 s0, s12, 0x51
	s_add_i32 s1, s6, s1
	v_mov_b32_e32 v1, v5
	s_lshl_b64 s[14:15], s[0:1], 4
	v_lshlrev_b64 v[0:1], 4, v[0:1]
	v_add_co_u32 v0, vcc_lo, s10, v0
	v_add_co_ci_u32_e32 v1, vcc_lo, s11, v1, vcc_lo
	buffer_store_dword v7, off, s[60:63], 0 ; 4-byte Folded Spill
	buffer_store_dword v19, off, s[60:63], 0 offset:420 ; 4-byte Folded Spill
	buffer_store_dword v20, off, s[60:63], 0 offset:424 ; 4-byte Folded Spill
	v_mad_u64_u32 v[6:7], null, s13, v7, v[4:5]
	v_mov_b32_e32 v4, v6
	v_lshlrev_b64 v[3:4], 4, v[3:4]
	v_add_co_u32 v0, vcc_lo, v0, v3
	v_add_co_ci_u32_e32 v1, vcc_lo, v1, v4, vcc_lo
	v_add_co_u32 v7, vcc_lo, v0, s14
	v_add_co_ci_u32_e32 v8, vcc_lo, s15, v1, vcc_lo
	global_load_dwordx4 v[111:114], v[19:20], off offset:1840
	buffer_store_dword v17, off, s[60:63], 0 offset:404 ; 4-byte Folded Spill
	buffer_store_dword v18, off, s[60:63], 0 offset:408 ; 4-byte Folded Spill
	s_clause 0x1
	global_load_dwordx4 v[107:110], v[17:18], off offset:1088
	global_load_dwordx4 v[103:106], v[15:16], off offset:336
	buffer_store_dword v15, off, s[60:63], 0 offset:396 ; 4-byte Folded Spill
	buffer_store_dword v16, off, s[60:63], 0 offset:400 ; 4-byte Folded Spill
	global_load_dwordx4 v[155:158], v[15:16], off offset:1632
	buffer_store_dword v11, off, s[60:63], 0 offset:380 ; 4-byte Folded Spill
	buffer_store_dword v12, off, s[60:63], 0 offset:384 ; 4-byte Folded Spill
	s_clause 0x1
	global_load_dwordx4 v[147:150], v[13:14], off offset:128
	global_load_dwordx4 v[151:154], v[11:12], off offset:880
	buffer_store_dword v13, off, s[60:63], 0 offset:372 ; 4-byte Folded Spill
	buffer_store_dword v14, off, s[60:63], 0 offset:376 ; 4-byte Folded Spill
	v_add_co_u32 v11, vcc_lo, v7, s14
	v_add_co_ci_u32_e32 v12, vcc_lo, s15, v8, vcc_lo
	global_load_dwordx4 v[119:122], v[9:10], off offset:672
	v_add_co_u32 v15, vcc_lo, v11, s14
	v_add_co_ci_u32_e32 v16, vcc_lo, s15, v12, vcc_lo
	v_add_co_u32 v19, vcc_lo, v15, s14
	v_add_co_ci_u32_e32 v20, vcc_lo, s15, v16, vcc_lo
	global_load_dwordx4 v[123:126], v[13:14], off offset:1424
	buffer_store_dword v9, off, s[60:63], 0 offset:356 ; 4-byte Folded Spill
	buffer_store_dword v10, off, s[60:63], 0 offset:360 ; 4-byte Folded Spill
	global_load_dwordx4 v[115:118], v[9:10], off offset:1968
	s_clause 0x1
	global_load_dwordx4 v[3:6], v[0:1], off
	global_load_dwordx4 v[7:10], v[7:8], off
	v_add_co_u32 v0, vcc_lo, v19, s14
	v_add_co_ci_u32_e32 v1, vcc_lo, s15, v20, vcc_lo
	s_clause 0x1
	global_load_dwordx4 v[11:14], v[11:12], off
	global_load_dwordx4 v[15:18], v[15:16], off
	v_add_co_u32 v27, vcc_lo, v0, s14
	v_add_co_ci_u32_e32 v28, vcc_lo, s15, v1, vcc_lo
	global_load_dwordx4 v[23:26], v[0:1], off
	v_add_co_u32 v31, vcc_lo, v27, s14
	v_add_co_ci_u32_e32 v32, vcc_lo, s15, v28, vcc_lo
	global_load_dwordx4 v[19:22], v[19:20], off
	v_add_co_u32 v0, vcc_lo, v31, s14
	v_add_co_ci_u32_e32 v1, vcc_lo, s15, v32, vcc_lo
	global_load_dwordx4 v[27:30], v[27:28], off
	v_add_co_u32 v39, vcc_lo, v0, s14
	v_add_co_ci_u32_e32 v40, vcc_lo, s15, v1, vcc_lo
	global_load_dwordx4 v[35:38], v[0:1], off
	v_add_co_u32 v43, vcc_lo, v39, s14
	v_add_co_ci_u32_e32 v44, vcc_lo, s15, v40, vcc_lo
	global_load_dwordx4 v[31:34], v[31:32], off
	v_add_co_u32 v0, vcc_lo, v43, s14
	v_add_co_ci_u32_e32 v1, vcc_lo, s15, v44, vcc_lo
	global_load_dwordx4 v[39:42], v[39:40], off
	v_add_co_u32 v51, vcc_lo, v0, s14
	v_add_co_ci_u32_e32 v52, vcc_lo, s15, v1, vcc_lo
	global_load_dwordx4 v[47:50], v[0:1], off
	v_add_co_u32 v55, vcc_lo, v51, s14
	v_add_co_ci_u32_e32 v56, vcc_lo, s15, v52, vcc_lo
	global_load_dwordx4 v[43:46], v[43:44], off
	v_add_co_u32 v0, vcc_lo, v55, s14
	v_add_co_ci_u32_e32 v1, vcc_lo, s15, v56, vcc_lo
	global_load_dwordx4 v[51:54], v[51:52], off
	global_load_dwordx4 v[55:58], v[55:56], off
	buffer_store_dword v59, off, s[60:63], 0 offset:348 ; 4-byte Folded Spill
	buffer_store_dword v60, off, s[60:63], 0 offset:352 ; 4-byte Folded Spill
	v_add_co_u32 v63, vcc_lo, v0, s14
	v_add_co_ci_u32_e32 v64, vcc_lo, s15, v1, vcc_lo
	v_add_co_u32 v69, vcc_lo, 0x4800, v71
	v_add_co_ci_u32_e32 v70, vcc_lo, 0, v72, vcc_lo
	v_add_co_u32 v67, vcc_lo, 0x5000, v71
	s_clause 0x1
	global_load_dwordx4 v[131:134], v[59:60], off offset:1216
	global_load_dwordx4 v[127:130], v[65:66], off offset:464
	global_load_dwordx4 v[59:62], v[0:1], off
	buffer_store_dword v71, off, s[60:63], 0 offset:412 ; 4-byte Folded Spill
	buffer_store_dword v72, off, s[60:63], 0 offset:416 ; 4-byte Folded Spill
	;; [unrolled: 1-line block ×4, first 2 shown]
	s_waitcnt vmcnt(15)
	v_mul_f64 v[75:76], v[9:10], v[97:98]
	s_waitcnt vmcnt(14)
	v_mul_f64 v[79:80], v[13:14], v[161:162]
	;; [unrolled: 2-line block ×4, first 2 shown]
	v_mul_f64 v[91:92], v[25:26], v[105:106]
	v_mul_f64 v[73:74], v[3:4], v[101:102]
	;; [unrolled: 1-line block ×7, first 2 shown]
	v_fma_f64 v[7:8], v[7:8], v[95:96], v[75:76]
	v_fma_f64 v[11:12], v[11:12], v[159:160], v[79:80]
	;; [unrolled: 1-line block ×5, first 2 shown]
	s_waitcnt vmcnt(8)
	v_mul_f64 v[75:76], v[33:34], v[153:154]
	v_mul_f64 v[79:80], v[37:38], v[149:150]
	s_waitcnt vmcnt(7)
	v_mul_f64 v[83:84], v[41:42], v[125:126]
	s_waitcnt vmcnt(5)
	v_mul_f64 v[87:88], v[45:46], v[121:122]
	v_mul_f64 v[91:92], v[49:50], v[117:118]
	v_add_co_ci_u32_e32 v68, vcc_lo, 0, v72, vcc_lo
	v_add_co_u32 v0, vcc_lo, v63, s14
	v_add_co_ci_u32_e32 v1, vcc_lo, s15, v64, vcc_lo
	global_load_dwordx4 v[135:138], v[65:66], off offset:1760
	global_load_dwordx4 v[63:66], v[63:64], off
	buffer_store_dword v69, off, s[60:63], 0 offset:388 ; 4-byte Folded Spill
	buffer_store_dword v70, off, s[60:63], 0 offset:392 ; 4-byte Folded Spill
	v_mul_f64 v[71:72], v[5:6], v[101:102]
	v_cmp_gt_u16_e32 vcc_lo, 30, v2
	v_fma_f64 v[3:4], v[3:4], v[99:100], v[71:72]
	v_mul_f64 v[71:72], v[29:30], v[157:158]
	global_load_dwordx4 v[139:142], v[69:70], off offset:1008
	buffer_store_dword v67, off, s[60:63], 0 offset:364 ; 4-byte Folded Spill
	buffer_store_dword v68, off, s[60:63], 0 offset:368 ; 4-byte Folded Spill
	global_load_dwordx4 v[143:146], v[67:68], off offset:256
	global_load_dwordx4 v[67:70], v[0:1], off
	buffer_store_dword v99, off, s[60:63], 0 offset:468 ; 4-byte Folded Spill
	buffer_store_dword v100, off, s[60:63], 0 offset:472 ; 4-byte Folded Spill
	;; [unrolled: 1-line block ×24, first 2 shown]
	s_waitcnt vmcnt(7)
	v_mul_f64 v[97:98], v[51:52], v[133:134]
	s_waitcnt vmcnt(6)
	v_mul_f64 v[101:102], v[55:56], v[129:130]
	;; [unrolled: 2-line block ×4, first 2 shown]
	v_fma_f64 v[5:6], v[5:6], v[99:100], -v[73:74]
	v_fma_f64 v[9:10], v[9:10], v[95:96], -v[77:78]
	v_mul_f64 v[95:96], v[53:54], v[133:134]
	v_mul_f64 v[99:100], v[57:58], v[129:130]
	v_fma_f64 v[21:22], v[21:22], v[107:108], -v[89:90]
	v_fma_f64 v[25:26], v[25:26], v[103:104], -v[93:94]
	v_mul_f64 v[103:104], v[61:62], v[137:138]
	v_mul_f64 v[107:108], v[65:66], v[141:142]
	v_fma_f64 v[17:18], v[17:18], v[111:112], -v[85:86]
	s_waitcnt vmcnt(0)
	v_mul_f64 v[111:112], v[69:70], v[145:146]
	v_mul_f64 v[73:74], v[27:28], v[157:158]
	v_fma_f64 v[13:14], v[13:14], v[159:160], -v[81:82]
	v_mul_f64 v[77:78], v[31:32], v[153:154]
	v_mul_f64 v[81:82], v[35:36], v[149:150]
	;; [unrolled: 1-line block ×5, first 2 shown]
	v_fma_f64 v[27:28], v[27:28], v[155:156], v[71:72]
	buffer_store_dword v155, off, s[60:63], 0 offset:660 ; 4-byte Folded Spill
	buffer_store_dword v156, off, s[60:63], 0 offset:664 ; 4-byte Folded Spill
	buffer_store_dword v157, off, s[60:63], 0 offset:668 ; 4-byte Folded Spill
	buffer_store_dword v158, off, s[60:63], 0 offset:672 ; 4-byte Folded Spill
	v_fma_f64 v[31:32], v[31:32], v[151:152], v[75:76]
	buffer_store_dword v151, off, s[60:63], 0 offset:612 ; 4-byte Folded Spill
	buffer_store_dword v152, off, s[60:63], 0 offset:616 ; 4-byte Folded Spill
	buffer_store_dword v153, off, s[60:63], 0 offset:620 ; 4-byte Folded Spill
	buffer_store_dword v154, off, s[60:63], 0 offset:624 ; 4-byte Folded Spill
	;; [unrolled: 5-line block ×10, first 2 shown]
	v_mul_f64 v[113:114], v[67:68], v[145:146]
	v_fma_f64 v[67:68], v[67:68], v[143:144], v[111:112]
	buffer_store_dword v143, off, s[60:63], 0 offset:580 ; 4-byte Folded Spill
	buffer_store_dword v144, off, s[60:63], 0 offset:584 ; 4-byte Folded Spill
	;; [unrolled: 1-line block ×4, first 2 shown]
	s_load_dwordx2 s[6:7], s[4:5], 0x38
	s_load_dwordx4 s[8:11], s[2:3], 0x0
	v_fma_f64 v[29:30], v[29:30], v[155:156], -v[73:74]
	v_fma_f64 v[33:34], v[33:34], v[151:152], -v[77:78]
	;; [unrolled: 1-line block ×7, first 2 shown]
	ds_write_b128 v238, v[3:6]
	ds_write_b128 v238, v[7:10] offset:1296
	ds_write_b128 v238, v[11:14] offset:2592
	;; [unrolled: 1-line block ×12, first 2 shown]
	v_fma_f64 v[57:58], v[57:58], v[127:128], -v[101:102]
	v_fma_f64 v[61:62], v[61:62], v[135:136], -v[105:106]
	;; [unrolled: 1-line block ×4, first 2 shown]
	ds_write_b128 v238, v[55:58] offset:16848
	ds_write_b128 v238, v[59:62] offset:18144
	;; [unrolled: 1-line block ×4, first 2 shown]
	s_and_saveexec_b32 s1, vcc_lo
	s_cbranch_execz .LBB0_3
; %bb.2:
	v_mad_u64_u32 v[28:29], null, 0xffffb230, s12, v[0:1]
	s_clause 0x1
	buffer_load_dword v0, off, s[60:63], 0 offset:412
	buffer_load_dword v1, off, s[60:63], 0 offset:416
	s_mul_i32 s0, s13, 0xffffb230
	s_sub_i32 s0, s0, s12
	v_add_nc_u32_e32 v29, s0, v29
	v_add_co_u32 v32, s0, v28, s14
	v_add_co_ci_u32_e64 v33, s0, s15, v29, s0
	v_add_co_u32 v36, s0, v32, s14
	v_add_co_ci_u32_e64 v37, s0, s15, v33, s0
	;; [unrolled: 2-line block ×16, first 2 shown]
	s_waitcnt vmcnt(0)
	global_load_dwordx4 v[0:3], v[0:1], off offset:816
	s_clause 0x1
	buffer_load_dword v8, off, s[60:63], 0 offset:420
	buffer_load_dword v9, off, s[60:63], 0 offset:424
	s_waitcnt vmcnt(0)
	s_clause 0x1
	global_load_dwordx4 v[4:7], v[8:9], off offset:64
	global_load_dwordx4 v[8:11], v[8:9], off offset:1360
	s_clause 0x1
	buffer_load_dword v16, off, s[60:63], 0 offset:404
	buffer_load_dword v17, off, s[60:63], 0 offset:408
	s_waitcnt vmcnt(0)
	s_clause 0x1
	global_load_dwordx4 v[12:15], v[16:17], off offset:608
	global_load_dwordx4 v[16:19], v[16:17], off offset:1904
	s_clause 0x1
	buffer_load_dword v20, off, s[60:63], 0 offset:396
	buffer_load_dword v21, off, s[60:63], 0 offset:400
	s_waitcnt vmcnt(0)
	global_load_dwordx4 v[20:23], v[20:21], off offset:1152
	s_clause 0x1
	buffer_load_dword v66, off, s[60:63], 0 offset:380
	buffer_load_dword v67, off, s[60:63], 0 offset:384
	global_load_dwordx4 v[28:31], v[28:29], off
	global_load_dwordx4 v[32:35], v[32:33], off
	;; [unrolled: 1-line block ×4, first 2 shown]
	s_waitcnt vmcnt(4)
	global_load_dwordx4 v[24:27], v[66:67], off offset:400
	global_load_dwordx4 v[44:47], v[44:45], off
	global_load_dwordx4 v[48:51], v[48:49], off
	;; [unrolled: 1-line block ×5, first 2 shown]
	global_load_dwordx4 v[64:67], v[66:67], off offset:1696
	s_clause 0x1
	buffer_load_dword v68, off, s[60:63], 0 offset:372
	buffer_load_dword v69, off, s[60:63], 0 offset:376
	global_load_dwordx4 v[72:75], v[72:73], off
	global_load_dwordx4 v[76:79], v[76:77], off
	s_waitcnt vmcnt(14)
	v_mul_f64 v[136:137], v[30:31], v[2:3]
	v_mul_f64 v[2:3], v[28:29], v[2:3]
	s_waitcnt vmcnt(13)
	v_mul_f64 v[138:139], v[34:35], v[6:7]
	v_mul_f64 v[6:7], v[32:33], v[6:7]
	;; [unrolled: 3-line block ×4, first 2 shown]
	v_fma_f64 v[28:29], v[28:29], v[0:1], v[136:137]
	v_fma_f64 v[30:31], v[30:31], v[0:1], -v[2:3]
	v_fma_f64 v[0:1], v[32:33], v[4:5], v[138:139]
	v_fma_f64 v[2:3], v[34:35], v[4:5], -v[6:7]
	;; [unrolled: 2-line block ×4, first 2 shown]
	s_waitcnt vmcnt(9)
	v_mul_f64 v[144:145], v[46:47], v[18:19]
	v_mul_f64 v[18:19], v[44:45], v[18:19]
	s_waitcnt vmcnt(8)
	v_mul_f64 v[146:147], v[50:51], v[22:23]
	v_mul_f64 v[22:23], v[48:49], v[22:23]
	;; [unrolled: 3-line block ×3, first 2 shown]
	s_waitcnt vmcnt(2)
	global_load_dwordx4 v[68:71], v[68:69], off offset:944
	s_clause 0x1
	buffer_load_dword v84, off, s[60:63], 0 offset:356
	buffer_load_dword v85, off, s[60:63], 0 offset:360
	v_mul_f64 v[34:35], v[58:59], v[66:67]
	v_mul_f64 v[36:37], v[56:57], v[66:67]
	s_waitcnt vmcnt(0)
	s_clause 0x1
	global_load_dwordx4 v[80:83], v[84:85], off offset:192
	global_load_dwordx4 v[84:87], v[84:85], off offset:1488
	global_load_dwordx4 v[88:91], v[88:89], off
	global_load_dwordx4 v[92:95], v[92:93], off
	s_clause 0x1
	buffer_load_dword v100, off, s[60:63], 0 offset:348
	buffer_load_dword v101, off, s[60:63], 0 offset:352
	v_mul_f64 v[38:39], v[62:63], v[70:71]
	v_mul_f64 v[40:41], v[60:61], v[70:71]
	v_fma_f64 v[12:13], v[44:45], v[16:17], v[144:145]
	v_fma_f64 v[14:15], v[46:47], v[16:17], -v[18:19]
	v_fma_f64 v[16:17], v[48:49], v[20:21], v[146:147]
	v_fma_f64 v[18:19], v[50:51], v[20:21], -v[22:23]
	;; [unrolled: 2-line block ×4, first 2 shown]
	s_waitcnt vmcnt(0)
	s_clause 0x1
	global_load_dwordx4 v[96:99], v[100:101], off offset:736
	global_load_dwordx4 v[100:103], v[100:101], off offset:2032
	global_load_dwordx4 v[104:107], v[108:109], off
	s_clause 0x1
	buffer_load_dword v108, off, s[60:63], 0 offset:340
	buffer_load_dword v109, off, s[60:63], 0 offset:344
	global_load_dwordx4 v[112:115], v[112:113], off
	v_mul_f64 v[42:43], v[74:75], v[82:83]
	v_mul_f64 v[44:45], v[72:73], v[82:83]
	;; [unrolled: 1-line block ×4, first 2 shown]
	v_fma_f64 v[32:33], v[60:61], v[68:69], v[38:39]
	v_fma_f64 v[34:35], v[62:63], v[68:69], -v[40:41]
	v_fma_f64 v[36:37], v[72:73], v[80:81], v[42:43]
	v_fma_f64 v[38:39], v[74:75], v[80:81], -v[44:45]
	;; [unrolled: 2-line block ×3, first 2 shown]
	s_waitcnt vmcnt(5)
	v_mul_f64 v[50:51], v[90:91], v[98:99]
	v_mul_f64 v[66:67], v[88:89], v[98:99]
	s_waitcnt vmcnt(4)
	v_mul_f64 v[70:71], v[94:95], v[102:103]
	s_waitcnt vmcnt(1)
	global_load_dwordx4 v[108:111], v[108:109], off offset:1280
	s_clause 0x1
	buffer_load_dword v124, off, s[60:63], 0 offset:388
	buffer_load_dword v125, off, s[60:63], 0 offset:392
	v_mul_f64 v[82:83], v[92:93], v[102:103]
	s_waitcnt vmcnt(0)
	global_load_dwordx4 v[116:119], v[124:125], off offset:528
	global_load_dwordx4 v[120:123], v[120:121], off
	global_load_dwordx4 v[124:127], v[124:125], off offset:1824
	s_clause 0x1
	buffer_load_dword v128, off, s[60:63], 0 offset:364
	buffer_load_dword v129, off, s[60:63], 0 offset:368
	v_mul_f64 v[86:87], v[106:107], v[110:111]
	v_mul_f64 v[98:99], v[104:105], v[110:111]
	v_fma_f64 v[44:45], v[88:89], v[96:97], v[50:51]
	v_fma_f64 v[46:47], v[90:91], v[96:97], -v[66:67]
	v_fma_f64 v[48:49], v[92:93], v[100:101], v[70:71]
	v_fma_f64 v[50:51], v[94:95], v[100:101], -v[82:83]
	s_waitcnt vmcnt(0)
	global_load_dwordx4 v[128:131], v[128:129], off offset:1072
	global_load_dwordx4 v[132:135], v[132:133], off
	v_mul_f64 v[102:103], v[114:115], v[118:119]
	v_mul_f64 v[110:111], v[112:113], v[118:119]
	;; [unrolled: 1-line block ×4, first 2 shown]
	v_fma_f64 v[52:53], v[104:105], v[108:109], v[86:87]
	v_fma_f64 v[54:55], v[106:107], v[108:109], -v[98:99]
	v_fma_f64 v[56:57], v[112:113], v[116:117], v[102:103]
	v_fma_f64 v[58:59], v[114:115], v[116:117], -v[110:111]
	;; [unrolled: 2-line block ×3, first 2 shown]
	s_waitcnt vmcnt(0)
	v_mul_f64 v[136:137], v[134:135], v[130:131]
	v_mul_f64 v[130:131], v[132:133], v[130:131]
	v_fma_f64 v[64:65], v[132:133], v[128:129], v[136:137]
	v_fma_f64 v[66:67], v[134:135], v[128:129], -v[130:131]
	ds_write_b128 v238, v[28:31] offset:816
	ds_write_b128 v238, v[0:3] offset:2112
	;; [unrolled: 1-line block ×17, first 2 shown]
.LBB0_3:
	s_or_b32 exec_lo, exec_lo, s1
	s_waitcnt lgkmcnt(0)
	s_waitcnt_vscnt null, 0x0
	s_barrier
	buffer_gl0_inv
	ds_read_b128 v[104:107], v238
	ds_read_b128 v[132:135], v238 offset:1296
	ds_read_b128 v[128:131], v238 offset:2592
	;; [unrolled: 1-line block ×16, first 2 shown]
	s_load_dwordx2 s[4:5], s[4:5], 0x8
                                        ; implicit-def: $vgpr0_vgpr1
                                        ; implicit-def: $vgpr16_vgpr17
	buffer_store_dword v0, off, s[60:63], 0 offset:52 ; 4-byte Folded Spill
	buffer_store_dword v1, off, s[60:63], 0 offset:56 ; 4-byte Folded Spill
	buffer_store_dword v2, off, s[60:63], 0 offset:60 ; 4-byte Folded Spill
	buffer_store_dword v3, off, s[60:63], 0 offset:64 ; 4-byte Folded Spill
                                        ; implicit-def: $vgpr0_vgpr1
	buffer_store_dword v0, off, s[60:63], 0 offset:68 ; 4-byte Folded Spill
	buffer_store_dword v1, off, s[60:63], 0 offset:72 ; 4-byte Folded Spill
	buffer_store_dword v2, off, s[60:63], 0 offset:76 ; 4-byte Folded Spill
	buffer_store_dword v3, off, s[60:63], 0 offset:80 ; 4-byte Folded Spill
                                        ; implicit-def: $vgpr0_vgpr1
	;; [unrolled: 5-line block ×9, first 2 shown]
	buffer_store_dword v0, off, s[60:63], 0 offset:212 ; 4-byte Folded Spill
	buffer_store_dword v1, off, s[60:63], 0 offset:216 ; 4-byte Folded Spill
	;; [unrolled: 1-line block ×4, first 2 shown]
                                        ; implicit-def: $vgpr64_vgpr65
                                        ; implicit-def: $vgpr0_vgpr1
	buffer_store_dword v0, off, s[60:63], 0 offset:164 ; 4-byte Folded Spill
	buffer_store_dword v1, off, s[60:63], 0 offset:168 ; 4-byte Folded Spill
	buffer_store_dword v2, off, s[60:63], 0 offset:172 ; 4-byte Folded Spill
	buffer_store_dword v3, off, s[60:63], 0 offset:176 ; 4-byte Folded Spill
                                        ; implicit-def: $vgpr0_vgpr1
	buffer_store_dword v0, off, s[60:63], 0 offset:36 ; 4-byte Folded Spill
	buffer_store_dword v1, off, s[60:63], 0 offset:40 ; 4-byte Folded Spill
	buffer_store_dword v2, off, s[60:63], 0 offset:44 ; 4-byte Folded Spill
	buffer_store_dword v3, off, s[60:63], 0 offset:48 ; 4-byte Folded Spill
                                        ; implicit-def: $vgpr0_vgpr1
	buffer_store_dword v0, off, s[60:63], 0 offset:20 ; 4-byte Folded Spill
	buffer_store_dword v1, off, s[60:63], 0 offset:24 ; 4-byte Folded Spill
	buffer_store_dword v2, off, s[60:63], 0 offset:28 ; 4-byte Folded Spill
	buffer_store_dword v3, off, s[60:63], 0 offset:32 ; 4-byte Folded Spill
                                        ; implicit-def: $vgpr0_vgpr1
	buffer_store_dword v0, off, s[60:63], 0 offset:4 ; 4-byte Folded Spill
	buffer_store_dword v1, off, s[60:63], 0 offset:8 ; 4-byte Folded Spill
	buffer_store_dword v2, off, s[60:63], 0 offset:12 ; 4-byte Folded Spill
	buffer_store_dword v3, off, s[60:63], 0 offset:16 ; 4-byte Folded Spill
                                        ; implicit-def: $vgpr60_vgpr61
	s_and_saveexec_b32 s0, vcc_lo
	s_cbranch_execz .LBB0_5
; %bb.4:
	ds_read_b128 v[16:19], v238 offset:816
	ds_read_b128 v[0:3], v238 offset:2112
	s_waitcnt lgkmcnt(0)
	buffer_store_dword v0, off, s[60:63], 0 offset:52 ; 4-byte Folded Spill
	buffer_store_dword v1, off, s[60:63], 0 offset:56 ; 4-byte Folded Spill
	buffer_store_dword v2, off, s[60:63], 0 offset:60 ; 4-byte Folded Spill
	buffer_store_dword v3, off, s[60:63], 0 offset:64 ; 4-byte Folded Spill
	ds_read_b128 v[0:3], v238 offset:3408
	s_waitcnt lgkmcnt(0)
	buffer_store_dword v0, off, s[60:63], 0 offset:68 ; 4-byte Folded Spill
	buffer_store_dword v1, off, s[60:63], 0 offset:72 ; 4-byte Folded Spill
	buffer_store_dword v2, off, s[60:63], 0 offset:76 ; 4-byte Folded Spill
	buffer_store_dword v3, off, s[60:63], 0 offset:80 ; 4-byte Folded Spill
	;; [unrolled: 6-line block ×10, first 2 shown]
	ds_read_b128 v[64:67], v238 offset:15072
	ds_read_b128 v[0:3], v238 offset:16368
	s_waitcnt lgkmcnt(0)
	buffer_store_dword v0, off, s[60:63], 0 offset:164 ; 4-byte Folded Spill
	buffer_store_dword v1, off, s[60:63], 0 offset:168 ; 4-byte Folded Spill
	buffer_store_dword v2, off, s[60:63], 0 offset:172 ; 4-byte Folded Spill
	buffer_store_dword v3, off, s[60:63], 0 offset:176 ; 4-byte Folded Spill
	ds_read_b128 v[0:3], v238 offset:17664
	s_waitcnt lgkmcnt(0)
	buffer_store_dword v0, off, s[60:63], 0 offset:36 ; 4-byte Folded Spill
	buffer_store_dword v1, off, s[60:63], 0 offset:40 ; 4-byte Folded Spill
	buffer_store_dword v2, off, s[60:63], 0 offset:44 ; 4-byte Folded Spill
	buffer_store_dword v3, off, s[60:63], 0 offset:48 ; 4-byte Folded Spill
	;; [unrolled: 6-line block ×4, first 2 shown]
	ds_read_b128 v[60:63], v238 offset:21552
.LBB0_5:
	s_or_b32 exec_lo, exec_lo, s0
	s_waitcnt lgkmcnt(0)
	v_add_f64 v[0:1], v[104:105], v[132:133]
	v_add_f64 v[2:3], v[106:107], v[134:135]
	v_add_f64 v[8:9], v[132:133], -v[68:69]
	v_add_f64 v[10:11], v[134:135], -v[70:71]
	s_mov_b32 s38, 0x5d8e7cdc
	s_mov_b32 s40, 0x2a9d6da3
	s_mov_b32 s42, 0x7c9e640b
	s_mov_b32 s44, 0xeb564b22
	s_mov_b32 s26, 0x923c349f
	s_mov_b32 s28, 0x6c9a05f6
	s_mov_b32 s34, 0x4363dd80
	s_mov_b32 s50, 0xacd6c6b4
	s_mov_b32 s39, 0xbfd71e95
	s_mov_b32 s41, 0xbfe58eea
	s_mov_b32 s43, 0xbfeca52d
	s_mov_b32 s45, 0xbfefdd0d
	s_mov_b32 s27, 0xbfeec746
	s_mov_b32 s29, 0xbfe9895b
	s_mov_b32 s35, 0xbfe0d888
	s_mov_b32 s51, 0xbfc7851a
	v_add_f64 v[4:5], v[132:133], v[68:69]
	v_add_f64 v[6:7], v[134:135], v[70:71]
	;; [unrolled: 1-line block ×6, first 2 shown]
	v_add_f64 v[20:21], v[128:129], -v[108:109]
	v_add_f64 v[22:23], v[130:131], -v[110:111]
	v_add_f64 v[24:25], v[124:125], v[112:113]
	v_add_f64 v[26:27], v[126:127], v[114:115]
	v_add_f64 v[28:29], v[124:125], -v[112:113]
	v_add_f64 v[30:31], v[126:127], -v[114:115]
	v_add_f64 v[32:33], v[120:121], v[116:117]
	v_add_f64 v[34:35], v[122:123], v[118:119]
	v_add_f64 v[36:37], v[120:121], -v[116:117]
	v_add_f64 v[38:39], v[122:123], -v[118:119]
	v_mul_f64 v[40:41], v[10:11], s[38:39]
	v_mul_f64 v[42:43], v[8:9], s[38:39]
	;; [unrolled: 1-line block ×8, first 2 shown]
	v_add_f64 v[0:1], v[0:1], v[124:125]
	v_add_f64 v[2:3], v[2:3], v[126:127]
	v_mul_f64 v[124:125], v[10:11], s[28:29]
	v_mul_f64 v[126:127], v[8:9], s[28:29]
	;; [unrolled: 1-line block ×4, first 2 shown]
	s_mov_b32 s2, 0x370991
	s_mov_b32 s0, 0x75d4884
	;; [unrolled: 1-line block ×16, first 2 shown]
	v_add_f64 v[0:1], v[0:1], v[120:121]
	v_add_f64 v[2:3], v[2:3], v[122:123]
	v_mul_f64 v[120:121], v[10:11], s[26:27]
	v_mul_f64 v[122:123], v[8:9], s[26:27]
	;; [unrolled: 1-line block ×4, first 2 shown]
	s_mov_b32 s47, 0x3fe0d888
	s_mov_b32 s49, 0x3feec746
	;; [unrolled: 1-line block ×8, first 2 shown]
	v_mul_f64 v[132:133], v[22:23], s[40:41]
	v_mul_f64 v[134:135], v[20:21], s[40:41]
	;; [unrolled: 1-line block ×8, first 2 shown]
	v_add_f64 v[0:1], v[0:1], v[96:97]
	v_add_f64 v[2:3], v[2:3], v[98:99]
	v_mul_f64 v[148:149], v[22:23], s[46:47]
	v_mul_f64 v[150:151], v[20:21], s[46:47]
	;; [unrolled: 1-line block ×8, first 2 shown]
	v_fma_f64 v[160:161], v[4:5], s[2:3], -v[40:41]
	v_fma_f64 v[162:163], v[6:7], s[2:3], v[42:43]
	v_fma_f64 v[40:41], v[4:5], s[2:3], v[40:41]
	v_fma_f64 v[42:43], v[6:7], s[2:3], -v[42:43]
	v_fma_f64 v[164:165], v[4:5], s[0:1], -v[44:45]
	v_fma_f64 v[166:167], v[6:7], s[0:1], v[46:47]
	v_fma_f64 v[44:45], v[4:5], s[0:1], v[44:45]
	v_fma_f64 v[46:47], v[6:7], s[0:1], -v[46:47]
	;; [unrolled: 4-line block ×3, first 2 shown]
	v_add_f64 v[0:1], v[0:1], v[88:89]
	v_add_f64 v[2:3], v[2:3], v[90:91]
	v_fma_f64 v[172:173], v[4:5], s[12:13], -v[52:53]
	v_fma_f64 v[174:175], v[6:7], s[12:13], v[54:55]
	v_fma_f64 v[52:53], v[4:5], s[12:13], v[52:53]
	v_fma_f64 v[54:55], v[6:7], s[12:13], -v[54:55]
	v_fma_f64 v[176:177], v[4:5], s[22:23], -v[120:121]
	v_fma_f64 v[178:179], v[6:7], s[22:23], v[122:123]
	v_fma_f64 v[120:121], v[4:5], s[22:23], v[120:121]
	v_fma_f64 v[122:123], v[6:7], s[22:23], -v[122:123]
	;; [unrolled: 4-line block ×3, first 2 shown]
	v_fma_f64 v[184:185], v[4:5], s[18:19], -v[128:129]
	v_fma_f64 v[186:187], v[6:7], s[20:21], v[8:9]
	s_mov_b32 s57, 0x3fc7851a
	s_mov_b32 s53, 0x3fe58eea
	;; [unrolled: 1-line block ×4, first 2 shown]
	v_fma_f64 v[188:189], v[12:13], s[12:13], -v[136:137]
	v_fma_f64 v[190:191], v[14:15], s[12:13], v[138:139]
	v_add_f64 v[0:1], v[0:1], v[80:81]
	v_add_f64 v[2:3], v[2:3], v[82:83]
	v_fma_f64 v[136:137], v[12:13], s[12:13], v[136:137]
	v_fma_f64 v[138:139], v[14:15], s[12:13], -v[138:139]
	v_fma_f64 v[192:193], v[12:13], s[14:15], -v[140:141]
	v_fma_f64 v[194:195], v[14:15], s[14:15], v[142:143]
	v_fma_f64 v[140:141], v[12:13], s[14:15], v[140:141]
	v_fma_f64 v[142:143], v[14:15], s[14:15], -v[142:143]
	v_fma_f64 v[196:197], v[12:13], s[20:21], -v[144:145]
	v_add_f64 v[160:161], v[104:105], v[160:161]
	v_add_f64 v[162:163], v[106:107], v[162:163]
	;; [unrolled: 1-line block ×28, first 2 shown]
	v_fma_f64 v[198:199], v[14:15], s[24:25], v[158:159]
	v_fma_f64 v[158:159], v[14:15], s[24:25], -v[158:159]
	v_fma_f64 v[200:201], v[14:15], s[2:3], v[20:21]
	v_mul_f64 v[202:203], v[30:31], s[28:29]
	v_mul_f64 v[204:205], v[30:31], s[56:57]
	;; [unrolled: 1-line block ×4, first 2 shown]
	v_add_f64 v[0:1], v[0:1], v[76:77]
	v_add_f64 v[2:3], v[2:3], v[78:79]
	v_mul_f64 v[210:211], v[30:31], s[38:39]
	v_mul_f64 v[212:213], v[30:31], s[44:45]
	;; [unrolled: 1-line block ×8, first 2 shown]
	v_add_f64 v[48:49], v[140:141], v[48:49]
	v_mul_f64 v[140:141], v[38:39], s[44:45]
	v_add_f64 v[44:45], v[136:137], v[44:45]
	v_add_f64 v[46:47], v[138:139], v[46:47]
	;; [unrolled: 1-line block ×4, first 2 shown]
	v_mul_f64 v[142:143], v[36:37], s[50:51]
	s_mov_b32 s59, 0x3fe9895b
	v_fma_f64 v[216:217], v[24:25], s[14:15], -v[202:203]
	v_fma_f64 v[202:203], v[24:25], s[14:15], v[202:203]
	v_fma_f64 v[218:219], v[24:25], s[20:21], -v[204:205]
	v_fma_f64 v[204:205], v[24:25], s[20:21], v[204:205]
	v_add_f64 v[0:1], v[0:1], v[84:85]
	v_add_f64 v[2:3], v[2:3], v[86:87]
	v_fma_f64 v[220:221], v[24:25], s[22:23], -v[206:207]
	v_fma_f64 v[206:207], v[24:25], s[22:23], v[206:207]
	v_fma_f64 v[222:223], v[24:25], s[0:1], -v[208:209]
	v_fma_f64 v[208:209], v[24:25], s[0:1], v[208:209]
	;; [unrolled: 2-line block ×4, first 2 shown]
	v_fma_f64 v[245:246], v[26:27], s[14:15], v[230:231]
	v_fma_f64 v[230:231], v[26:27], s[14:15], -v[230:231]
	v_fma_f64 v[247:248], v[26:27], s[20:21], v[232:233]
	v_fma_f64 v[232:233], v[26:27], s[20:21], -v[232:233]
	;; [unrolled: 2-line block ×6, first 2 shown]
	v_add_f64 v[0:1], v[0:1], v[92:93]
	v_add_f64 v[2:3], v[2:3], v[94:95]
	;; [unrolled: 1-line block ×3, first 2 shown]
	s_mov_b32 s58, s28
	v_add_f64 v[138:139], v[196:197], v[172:173]
	v_add_f64 v[48:49], v[204:205], v[48:49]
	s_mov_b32 s55, 0x3fefdd0d
	s_mov_b32 s54, s44
	v_add_f64 v[46:47], v[230:231], v[46:47]
	v_add_f64 v[136:137], v[247:248], v[136:137]
	;; [unrolled: 1-line block ×8, first 2 shown]
	v_fma_f64 v[116:117], v[6:7], s[18:19], v[130:131]
	v_fma_f64 v[118:119], v[4:5], s[18:19], v[128:129]
	v_fma_f64 v[128:129], v[6:7], s[18:19], -v[130:131]
	v_fma_f64 v[130:131], v[4:5], s[20:21], -v[10:11]
	v_fma_f64 v[4:5], v[4:5], s[20:21], v[10:11]
	v_fma_f64 v[6:7], v[6:7], s[20:21], -v[8:9]
	v_fma_f64 v[8:9], v[12:13], s[0:1], -v[132:133]
	v_fma_f64 v[10:11], v[14:15], s[0:1], v[134:135]
	v_fma_f64 v[132:133], v[12:13], s[0:1], v[132:133]
	v_fma_f64 v[134:135], v[14:15], s[0:1], -v[134:135]
	v_add_f64 v[0:1], v[0:1], v[112:113]
	v_add_f64 v[2:3], v[2:3], v[114:115]
	v_fma_f64 v[112:113], v[14:15], s[20:21], v[146:147]
	v_fma_f64 v[114:115], v[12:13], s[20:21], v[144:145]
	v_fma_f64 v[144:145], v[14:15], s[20:21], -v[146:147]
	v_fma_f64 v[146:147], v[12:13], s[18:19], -v[148:149]
	v_add_f64 v[116:117], v[106:107], v[116:117]
	v_add_f64 v[118:119], v[104:105], v[118:119]
	;; [unrolled: 1-line block ×6, first 2 shown]
	v_fma_f64 v[104:105], v[14:15], s[18:19], v[150:151]
	v_fma_f64 v[106:107], v[12:13], s[18:19], v[148:149]
	v_fma_f64 v[148:149], v[14:15], s[18:19], -v[150:151]
	v_fma_f64 v[150:151], v[12:13], s[22:23], -v[152:153]
	v_fma_f64 v[152:153], v[12:13], s[22:23], v[152:153]
	v_add_f64 v[8:9], v[8:9], v[160:161]
	v_add_f64 v[10:11], v[10:11], v[162:163]
	;; [unrolled: 1-line block ×4, first 2 shown]
	v_fma_f64 v[108:109], v[12:13], s[24:25], -v[156:157]
	v_fma_f64 v[110:111], v[12:13], s[24:25], v[156:157]
	v_fma_f64 v[156:157], v[12:13], s[2:3], -v[22:23]
	v_fma_f64 v[12:13], v[12:13], s[2:3], v[22:23]
	v_fma_f64 v[22:23], v[14:15], s[22:23], v[154:155]
	v_fma_f64 v[154:155], v[14:15], s[22:23], -v[154:155]
	v_fma_f64 v[14:15], v[14:15], s[2:3], -v[20:21]
	v_mul_f64 v[20:21], v[30:31], s[42:43]
	v_mul_f64 v[30:31], v[30:31], s[34:35]
	v_add_f64 v[54:55], v[144:145], v[54:55]
	v_add_f64 v[116:117], v[198:199], v[116:117]
	v_mul_f64 v[144:145], v[38:39], s[48:49]
	v_add_f64 v[52:53], v[114:115], v[52:53]
	v_add_f64 v[114:115], v[146:147], v[176:177]
	;; [unrolled: 1-line block ×7, first 2 shown]
	v_mul_f64 v[146:147], v[36:37], s[58:59]
	v_add_f64 v[0:1], v[0:1], v[68:69]
	v_add_f64 v[2:3], v[2:3], v[70:71]
	;; [unrolled: 1-line block ×7, first 2 shown]
	v_mul_f64 v[12:13], v[36:37], s[44:45]
	v_add_f64 v[6:7], v[14:15], v[6:7]
	v_fma_f64 v[214:215], v[24:25], s[24:25], -v[20:21]
	v_fma_f64 v[20:21], v[24:25], s[24:25], v[20:21]
	v_fma_f64 v[228:229], v[24:25], s[18:19], -v[30:31]
	v_fma_f64 v[24:25], v[24:25], s[18:19], v[30:31]
	v_mul_f64 v[30:31], v[28:29], s[42:43]
	v_mul_f64 v[28:29], v[28:29], s[34:35]
	;; [unrolled: 1-line block ×3, first 2 shown]
	v_add_f64 v[56:57], v[56:57], v[116:117]
	v_fma_f64 v[116:117], v[34:35], s[20:21], -v[142:143]
	v_add_f64 v[22:23], v[22:23], v[182:183]
	v_add_f64 v[52:53], v[206:207], v[52:53]
	;; [unrolled: 1-line block ×4, first 2 shown]
	buffer_store_dword v0, off, s[60:63], 0 offset:708 ; 4-byte Folded Spill
	buffer_store_dword v1, off, s[60:63], 0 offset:712 ; 4-byte Folded Spill
	;; [unrolled: 1-line block ×4, first 2 shown]
	v_mul_f64 v[0:1], v[36:37], s[48:49]
	v_fma_f64 v[2:3], v[32:33], s[12:13], v[140:141]
	v_add_f64 v[70:71], v[226:227], v[108:109]
	v_fma_f64 v[108:109], v[34:35], s[20:21], v[142:143]
	v_mul_f64 v[142:143], v[36:37], s[36:37]
	v_add_f64 v[58:59], v[58:59], v[118:119]
	v_add_f64 v[120:121], v[236:237], v[120:121]
	v_add_f64 v[8:9], v[214:215], v[8:9]
	v_add_f64 v[126:127], v[154:155], v[126:127]
	v_add_f64 v[118:119], v[228:229], v[128:129]
	v_fma_f64 v[128:129], v[32:33], s[22:23], -v[144:145]
	v_fma_f64 v[243:244], v[26:27], s[24:25], v[30:31]
	v_fma_f64 v[30:31], v[26:27], s[24:25], -v[30:31]
	v_fma_f64 v[241:242], v[26:27], s[18:19], v[28:29]
	v_fma_f64 v[26:27], v[26:27], s[18:19], -v[28:29]
	v_add_f64 v[28:29], v[132:133], v[40:41]
	v_add_f64 v[40:41], v[134:135], v[42:43]
	;; [unrolled: 1-line block ×5, first 2 shown]
	v_fma_f64 v[68:69], v[32:33], s[20:21], -v[14:15]
	v_fma_f64 v[14:15], v[32:33], s[20:21], v[14:15]
	v_add_f64 v[4:5], v[24:25], v[4:5]
	v_mul_f64 v[24:25], v[38:39], s[42:43]
	v_add_f64 v[130:131], v[200:201], v[186:187]
	v_add_f64 v[112:113], v[249:250], v[112:113]
	;; [unrolled: 1-line block ×12, first 2 shown]
	v_fma_f64 v[28:29], v[32:33], s[12:13], -v[140:141]
	v_add_f64 v[30:31], v[30:31], v[40:41]
	v_fma_f64 v[40:41], v[34:35], s[12:13], v[12:13]
	v_add_f64 v[42:43], v[216:217], v[42:43]
	v_add_f64 v[132:133], v[245:246], v[132:133]
	v_add_f64 v[134:135], v[218:219], v[134:135]
	v_fma_f64 v[12:13], v[34:35], s[12:13], -v[12:13]
	v_mul_f64 v[140:141], v[38:39], s[36:37]
	v_mul_f64 v[26:27], v[36:37], s[42:43]
	v_add_f64 v[14:15], v[14:15], v[44:45]
	v_add_f64 v[130:131], v[241:242], v[130:131]
	v_add_f64 v[104:105], v[251:252], v[104:105]
	v_add_f64 v[2:3], v[2:3], v[20:21]
	v_add_f64 v[8:9], v[28:29], v[8:9]
	v_fma_f64 v[28:29], v[34:35], s[22:23], v[0:1]
	v_add_f64 v[10:11], v[40:41], v[10:11]
	v_add_f64 v[20:21], v[68:69], v[42:43]
	v_fma_f64 v[0:1], v[34:35], s[22:23], -v[0:1]
	v_add_f64 v[40:41], v[108:109], v[132:133]
	v_add_f64 v[12:13], v[12:13], v[30:31]
	v_fma_f64 v[30:31], v[32:33], s[22:23], v[144:145]
	v_add_f64 v[42:43], v[116:117], v[46:47]
	v_fma_f64 v[44:45], v[32:33], s[2:3], -v[140:141]
	v_fma_f64 v[46:47], v[34:35], s[2:3], v[142:143]
	v_mul_f64 v[68:69], v[38:39], s[34:35]
	v_fma_f64 v[108:109], v[32:33], s[2:3], v[140:141]
	v_mul_f64 v[116:117], v[36:37], s[34:35]
	v_add_f64 v[128:129], v[128:129], v[134:135]
	v_add_f64 v[132:133], v[98:99], -v[102:103]
	v_fma_f64 v[134:135], v[34:35], s[2:3], -v[142:143]
	v_fma_f64 v[140:141], v[32:33], s[24:25], -v[24:25]
	v_add_f64 v[142:143], v[96:97], -v[100:101]
	v_fma_f64 v[144:145], v[34:35], s[24:25], v[26:27]
	v_fma_f64 v[24:25], v[32:33], s[24:25], v[24:25]
	v_fma_f64 v[26:27], v[34:35], s[24:25], -v[26:27]
	v_mul_f64 v[36:37], v[36:37], s[52:53]
	v_add_f64 v[28:29], v[28:29], v[136:137]
	v_mul_f64 v[136:137], v[38:39], s[58:59]
	v_mul_f64 v[38:39], v[38:39], s[52:53]
	v_add_f64 v[0:1], v[0:1], v[50:51]
	v_add_f64 v[96:97], v[96:97], v[100:101]
	;; [unrolled: 1-line block ×6, first 2 shown]
	v_fma_f64 v[48:49], v[32:33], s[18:19], -v[68:69]
	v_add_f64 v[50:51], v[108:109], v[52:53]
	v_fma_f64 v[52:53], v[34:35], s[18:19], v[116:117]
	v_fma_f64 v[68:69], v[32:33], s[18:19], v[68:69]
	v_mul_f64 v[100:101], v[132:133], s[26:27]
	v_add_f64 v[54:55], v[134:135], v[54:55]
	v_add_f64 v[108:109], v[140:141], v[114:115]
	v_mul_f64 v[102:103], v[142:143], s[26:27]
	v_mul_f64 v[140:141], v[142:143], s[46:47]
	v_add_f64 v[24:25], v[24:25], v[106:107]
	v_add_f64 v[26:27], v[26:27], v[120:121]
	v_fma_f64 v[112:113], v[34:35], s[18:19], -v[116:117]
	v_fma_f64 v[116:117], v[34:35], s[14:15], v[146:147]
	v_fma_f64 v[114:115], v[32:33], s[14:15], -v[136:137]
	v_fma_f64 v[106:107], v[32:33], s[14:15], v[136:137]
	;; [unrolled: 2-line block ×4, first 2 shown]
	v_mul_f64 v[138:139], v[132:133], s[46:47]
	v_fma_f64 v[34:35], v[34:35], s[0:1], -v[36:37]
	v_mul_f64 v[38:39], v[132:133], s[52:53]
	v_add_f64 v[48:49], v[48:49], v[122:123]
	v_add_f64 v[104:105], v[144:145], v[104:105]
	v_add_f64 v[22:23], v[52:53], v[22:23]
	v_mul_f64 v[52:53], v[142:143], s[52:53]
	v_fma_f64 v[36:37], v[96:97], s[22:23], -v[100:101]
	v_fma_f64 v[100:101], v[96:97], s[22:23], v[100:101]
	v_add_f64 v[68:69], v[68:69], v[124:125]
	v_fma_f64 v[122:123], v[98:99], s[22:23], v[102:103]
	v_fma_f64 v[102:103], v[98:99], s[22:23], -v[102:103]
	v_fma_f64 v[124:125], v[98:99], s[18:19], v[140:141]
	v_add_f64 v[144:145], v[82:83], -v[86:87]
	v_add_f64 v[112:113], v[112:113], v[126:127]
	v_add_f64 v[56:57], v[116:117], v[56:57]
	;; [unrolled: 1-line block ×3, first 2 shown]
	v_mul_f64 v[114:115], v[132:133], s[42:43]
	v_add_f64 v[106:107], v[106:107], v[110:111]
	v_mul_f64 v[110:111], v[142:143], s[42:43]
	v_add_f64 v[4:5], v[32:33], v[4:5]
	v_fma_f64 v[32:33], v[98:99], s[18:19], -v[140:141]
	v_add_f64 v[58:59], v[134:135], v[58:59]
	v_add_f64 v[116:117], v[120:121], v[118:119]
	;; [unrolled: 1-line block ×3, first 2 shown]
	v_fma_f64 v[120:121], v[96:97], s[18:19], -v[138:139]
	v_fma_f64 v[126:127], v[96:97], s[18:19], v[138:139]
	v_add_f64 v[6:7], v[34:35], v[6:7]
	v_fma_f64 v[34:35], v[96:97], s[0:1], -v[38:39]
	v_add_f64 v[8:9], v[36:37], v[8:9]
	v_fma_f64 v[36:37], v[98:99], s[0:1], v[52:53]
	v_add_f64 v[2:3], v[100:101], v[2:3]
	v_add_f64 v[10:11], v[122:123], v[10:11]
	v_mul_f64 v[122:123], v[132:133], s[50:51]
	v_add_f64 v[12:13], v[102:103], v[12:13]
	v_mul_f64 v[100:101], v[142:143], s[50:51]
	v_fma_f64 v[38:39], v[96:97], s[0:1], v[38:39]
	v_fma_f64 v[52:53], v[98:99], s[0:1], -v[52:53]
	v_mul_f64 v[134:135], v[132:133], s[54:55]
	v_fma_f64 v[102:103], v[96:97], s[24:25], -v[114:115]
	v_mul_f64 v[136:137], v[142:143], s[54:55]
	v_fma_f64 v[130:131], v[98:99], s[24:25], v[110:111]
	v_fma_f64 v[110:111], v[98:99], s[24:25], -v[110:111]
	v_add_f64 v[32:33], v[32:33], v[42:43]
	v_add_f64 v[42:43], v[90:91], -v[94:95]
	v_add_f64 v[40:41], v[124:125], v[40:41]
	v_fma_f64 v[114:115], v[96:97], s[24:25], v[114:115]
	v_add_f64 v[20:21], v[120:121], v[20:21]
	v_add_f64 v[14:15], v[126:127], v[14:15]
	v_mul_f64 v[124:125], v[132:133], s[38:39]
	v_add_f64 v[34:35], v[34:35], v[128:129]
	v_mul_f64 v[126:127], v[142:143], s[38:39]
	v_add_f64 v[28:29], v[36:37], v[28:29]
	v_add_f64 v[36:37], v[88:89], -v[92:93]
	v_add_f64 v[88:89], v[88:89], v[92:93]
	v_fma_f64 v[120:121], v[96:97], s[20:21], -v[122:123]
	v_fma_f64 v[122:123], v[96:97], s[20:21], v[122:123]
	v_fma_f64 v[128:129], v[98:99], s[20:21], v[100:101]
	v_fma_f64 v[100:101], v[98:99], s[20:21], -v[100:101]
	v_add_f64 v[30:31], v[38:39], v[30:31]
	v_add_f64 v[0:1], v[52:53], v[0:1]
	;; [unrolled: 1-line block ×3, first 2 shown]
	v_fma_f64 v[52:53], v[98:99], s[12:13], v[136:137]
	v_add_f64 v[44:45], v[130:131], v[46:47]
	v_fma_f64 v[46:47], v[96:97], s[12:13], -v[134:135]
	v_mul_f64 v[102:103], v[132:133], s[28:29]
	v_mul_f64 v[130:131], v[142:143], s[28:29]
	v_add_f64 v[54:55], v[110:111], v[54:55]
	v_mul_f64 v[92:93], v[42:43], s[28:29]
	v_fma_f64 v[110:111], v[98:99], s[12:13], -v[136:137]
	v_fma_f64 v[132:133], v[96:97], s[12:13], v[134:135]
	v_add_f64 v[50:51], v[114:115], v[50:51]
	v_add_f64 v[90:91], v[90:91], v[94:95]
	v_fma_f64 v[114:115], v[96:97], s[2:3], -v[124:125]
	v_add_f64 v[146:147], v[80:81], -v[84:85]
	v_mul_f64 v[94:95], v[36:37], s[28:29]
	v_mul_f64 v[166:167], v[144:145], s[50:51]
	v_add_f64 v[108:109], v[120:121], v[108:109]
	v_fma_f64 v[120:121], v[98:99], s[2:3], v[126:127]
	v_add_f64 v[104:105], v[128:129], v[104:105]
	v_add_f64 v[24:25], v[122:123], v[24:25]
	;; [unrolled: 1-line block ×3, first 2 shown]
	v_fma_f64 v[100:101], v[96:97], s[2:3], v[124:125]
	v_mul_f64 v[122:123], v[42:43], s[48:49]
	v_mul_f64 v[124:125], v[36:37], s[48:49]
	v_fma_f64 v[126:127], v[98:99], s[2:3], -v[126:127]
	v_add_f64 v[46:47], v[46:47], v[48:49]
	v_add_f64 v[22:23], v[52:53], v[22:23]
	v_fma_f64 v[48:49], v[96:97], s[14:15], -v[102:103]
	v_fma_f64 v[52:53], v[98:99], s[14:15], v[130:131]
	v_mul_f64 v[128:129], v[42:43], s[38:39]
	v_fma_f64 v[96:97], v[96:97], s[14:15], v[102:103]
	v_fma_f64 v[98:99], v[98:99], s[14:15], -v[130:131]
	v_fma_f64 v[102:103], v[88:89], s[14:15], -v[92:93]
	v_add_f64 v[110:111], v[110:111], v[112:113]
	v_mul_f64 v[112:113], v[36:37], s[38:39]
	v_fma_f64 v[92:93], v[88:89], s[14:15], v[92:93]
	v_add_f64 v[68:69], v[132:133], v[68:69]
	v_fma_f64 v[130:131], v[90:91], s[14:15], v[94:95]
	v_add_f64 v[70:71], v[114:115], v[70:71]
	v_add_f64 v[56:57], v[120:121], v[56:57]
	v_fma_f64 v[94:95], v[90:91], s[14:15], -v[94:95]
	v_mul_f64 v[114:115], v[42:43], s[34:35]
	v_mul_f64 v[120:121], v[36:37], s[34:35]
	v_add_f64 v[100:101], v[100:101], v[106:107]
	v_fma_f64 v[106:107], v[88:89], s[22:23], -v[122:123]
	v_fma_f64 v[132:133], v[90:91], s[22:23], v[124:125]
	v_fma_f64 v[122:123], v[88:89], s[22:23], v[122:123]
	v_fma_f64 v[124:125], v[90:91], s[22:23], -v[124:125]
	v_add_f64 v[58:59], v[126:127], v[58:59]
	v_add_f64 v[48:49], v[48:49], v[116:117]
	;; [unrolled: 1-line block ×3, first 2 shown]
	v_mul_f64 v[116:117], v[42:43], s[54:55]
	v_fma_f64 v[118:119], v[88:89], s[2:3], -v[128:129]
	v_add_f64 v[4:5], v[96:97], v[4:5]
	v_add_f64 v[6:7], v[98:99], v[6:7]
	v_mul_f64 v[96:97], v[36:37], s[54:55]
	v_fma_f64 v[98:99], v[90:91], s[2:3], v[112:113]
	v_add_f64 v[2:3], v[92:93], v[2:3]
	v_fma_f64 v[92:93], v[88:89], s[2:3], v[128:129]
	v_add_f64 v[8:9], v[102:103], v[8:9]
	v_fma_f64 v[102:103], v[90:91], s[2:3], -v[112:113]
	v_mul_f64 v[126:127], v[42:43], s[40:41]
	v_add_f64 v[12:13], v[94:95], v[12:13]
	v_fma_f64 v[94:95], v[88:89], s[18:19], -v[114:115]
	v_fma_f64 v[112:113], v[90:91], s[18:19], v[120:121]
	v_fma_f64 v[114:115], v[88:89], s[18:19], v[114:115]
	v_add_f64 v[20:21], v[106:107], v[20:21]
	v_add_f64 v[40:41], v[132:133], v[40:41]
	;; [unrolled: 1-line block ×4, first 2 shown]
	v_mul_f64 v[124:125], v[36:37], s[50:51]
	v_mul_f64 v[106:107], v[36:37], s[40:41]
	;; [unrolled: 1-line block ×3, first 2 shown]
	v_fma_f64 v[122:123], v[88:89], s[12:13], -v[116:117]
	v_add_f64 v[34:35], v[118:119], v[34:35]
	v_mul_f64 v[118:119], v[42:43], s[50:51]
	v_mul_f64 v[42:43], v[42:43], s[30:31]
	v_fma_f64 v[128:129], v[90:91], s[12:13], v[96:97]
	v_add_f64 v[28:29], v[98:99], v[28:29]
	v_fma_f64 v[98:99], v[88:89], s[12:13], v[116:117]
	v_add_f64 v[30:31], v[92:93], v[30:31]
	v_fma_f64 v[92:93], v[90:91], s[12:13], -v[96:97]
	v_add_f64 v[0:1], v[102:103], v[0:1]
	v_fma_f64 v[102:103], v[88:89], s[0:1], v[126:127]
	v_fma_f64 v[120:121], v[90:91], s[18:19], -v[120:121]
	v_add_f64 v[38:39], v[94:95], v[38:39]
	v_add_f64 v[44:45], v[112:113], v[44:45]
	v_fma_f64 v[94:95], v[88:89], s[0:1], -v[126:127]
	v_add_f64 v[112:113], v[82:83], v[86:87]
	v_mul_f64 v[82:83], v[146:147], s[34:35]
	v_add_f64 v[10:11], v[130:131], v[10:11]
	v_add_f64 v[50:51], v[114:115], v[50:51]
	v_fma_f64 v[86:87], v[90:91], s[20:21], -v[124:125]
	v_fma_f64 v[96:97], v[90:91], s[0:1], v[106:107]
	v_fma_f64 v[106:107], v[90:91], s[0:1], -v[106:107]
	v_add_f64 v[132:133], v[122:123], v[108:109]
	v_add_f64 v[122:123], v[80:81], v[84:85]
	v_mul_f64 v[80:81], v[144:145], s[34:35]
	v_fma_f64 v[108:109], v[90:91], s[20:21], v[124:125]
	v_fma_f64 v[84:85], v[88:89], s[20:21], -v[118:119]
	v_add_f64 v[134:135], v[128:129], v[104:105]
	v_add_f64 v[148:149], v[98:99], v[24:25]
	v_fma_f64 v[24:25], v[88:89], s[20:21], v[118:119]
	v_add_f64 v[124:125], v[92:93], v[26:27]
	v_mul_f64 v[26:27], v[144:145], s[30:31]
	v_mul_f64 v[92:93], v[146:147], s[30:31]
	v_add_f64 v[54:55], v[120:121], v[54:55]
	v_add_f64 v[152:153], v[102:103], v[68:69]
	v_mul_f64 v[68:69], v[146:147], s[44:45]
	v_add_f64 v[158:159], v[94:95], v[46:47]
	v_fma_f64 v[46:47], v[88:89], s[24:25], -v[42:43]
	v_fma_f64 v[42:43], v[88:89], s[24:25], v[42:43]
	v_fma_f64 v[94:95], v[90:91], s[24:25], v[36:37]
	v_fma_f64 v[36:37], v[90:91], s[24:25], -v[36:37]
	v_add_f64 v[168:169], v[86:87], v[58:59]
	v_add_f64 v[126:127], v[96:97], v[22:23]
	;; [unrolled: 1-line block ×3, first 2 shown]
	v_mul_f64 v[150:151], v[146:147], s[38:39]
	v_mul_f64 v[22:23], v[144:145], s[44:45]
	v_fma_f64 v[88:89], v[122:123], s[18:19], -v[80:81]
	v_fma_f64 v[80:81], v[122:123], s[18:19], v[80:81]
	v_add_f64 v[160:161], v[108:109], v[56:57]
	v_mul_f64 v[56:57], v[144:145], s[58:59]
	v_add_f64 v[162:163], v[84:85], v[70:71]
	v_add_f64 v[164:165], v[24:25], v[100:101]
	v_fma_f64 v[24:25], v[112:113], s[18:19], -v[82:83]
	v_fma_f64 v[58:59], v[122:123], s[24:25], -v[26:27]
	v_fma_f64 v[26:27], v[122:123], s[24:25], v[26:27]
	v_fma_f64 v[84:85], v[112:113], s[18:19], v[82:83]
	;; [unrolled: 1-line block ×3, first 2 shown]
	v_mul_f64 v[70:71], v[146:147], s[58:59]
	v_mul_f64 v[170:171], v[146:147], s[50:51]
	v_add_f64 v[114:115], v[46:47], v[48:49]
	v_add_f64 v[118:119], v[42:43], v[4:5]
	v_mul_f64 v[46:47], v[144:145], s[38:39]
	v_add_f64 v[120:121], v[36:37], v[6:7]
	v_fma_f64 v[6:7], v[112:113], s[12:13], -v[68:69]
	v_add_f64 v[116:117], v[94:95], v[52:53]
	v_fma_f64 v[48:49], v[112:113], s[24:25], -v[92:93]
	v_fma_f64 v[178:179], v[112:113], s[2:3], v[150:151]
	v_fma_f64 v[52:53], v[122:123], s[12:13], -v[22:23]
	v_add_f64 v[108:109], v[88:89], v[8:9]
	v_add_f64 v[104:105], v[80:81], v[2:3]
	v_fma_f64 v[4:5], v[122:123], s[12:13], v[22:23]
	v_fma_f64 v[8:9], v[122:123], s[14:15], -v[56:57]
	v_fma_f64 v[2:3], v[122:123], s[14:15], v[56:57]
	v_mul_f64 v[174:175], v[146:147], s[52:53]
	v_add_f64 v[106:107], v[24:25], v[12:13]
	v_mul_f64 v[172:173], v[144:145], s[52:53]
	v_add_f64 v[80:81], v[26:27], v[14:15]
	s_clause 0x3
	buffer_load_dword v12, off, s[60:63], 0 offset:52
	buffer_load_dword v13, off, s[60:63], 0 offset:56
	;; [unrolled: 1-line block ×4, first 2 shown]
	v_add_f64 v[86:87], v[82:83], v[40:41]
	v_fma_f64 v[22:23], v[112:113], s[14:15], v[70:71]
	v_add_f64 v[110:111], v[84:85], v[10:11]
	v_add_f64 v[84:85], v[58:59], v[20:21]
	v_fma_f64 v[10:11], v[112:113], s[14:15], -v[70:71]
	v_fma_f64 v[176:177], v[122:123], s[2:3], -v[46:47]
	v_fma_f64 v[180:181], v[122:123], s[2:3], v[46:47]
	v_add_f64 v[94:95], v[6:7], v[0:1]
	v_fma_f64 v[0:1], v[112:113], s[2:3], -v[150:151]
	v_add_f64 v[82:83], v[48:49], v[32:33]
	v_fma_f64 v[90:91], v[112:113], s[12:13], v[68:69]
	v_add_f64 v[88:89], v[52:53], v[34:35]
	v_add_f64 v[138:139], v[72:73], -v[76:77]
	v_add_f64 v[142:143], v[74:75], -v[78:79]
	v_add_f64 v[92:93], v[4:5], v[30:31]
	v_add_f64 v[96:97], v[8:9], v[38:39]
	;; [unrolled: 1-line block ×3, first 2 shown]
	v_fma_f64 v[2:3], v[122:123], s[20:21], -v[166:167]
	v_fma_f64 v[4:5], v[112:113], s[20:21], v[170:171]
	v_mul_f64 v[8:9], v[144:145], s[26:27]
	v_fma_f64 v[26:27], v[112:113], s[0:1], -v[174:175]
	v_fma_f64 v[20:21], v[122:123], s[0:1], -v[172:173]
	v_fma_f64 v[24:25], v[122:123], s[0:1], v[172:173]
	v_add_f64 v[98:99], v[22:23], v[44:45]
	v_fma_f64 v[22:23], v[112:113], s[0:1], v[174:175]
	v_add_f64 v[68:69], v[72:73], v[76:77]
	v_add_f64 v[102:103], v[10:11], v[54:55]
	;; [unrolled: 1-line block ×5, first 2 shown]
	v_mul_f64 v[10:11], v[146:147], s[26:27]
	v_add_f64 v[70:71], v[74:75], v[78:79]
	v_add_f64 v[90:91], v[90:91], v[28:29]
	v_mul_f64 v[30:31], v[138:139], s[50:51]
	v_mul_f64 v[28:29], v[142:143], s[50:51]
	s_waitcnt vmcnt(0)
	v_add_f64 v[56:57], v[14:15], -v[62:63]
	v_add_f64 v[130:131], v[12:13], -v[60:61]
	v_add_f64 v[136:137], v[12:13], v[60:61]
	buffer_store_dword v60, off, s[60:63], 0 offset:724 ; 4-byte Folded Spill
	buffer_store_dword v61, off, s[60:63], 0 offset:728 ; 4-byte Folded Spill
	;; [unrolled: 1-line block ×4, first 2 shown]
	s_clause 0x7
	buffer_load_dword v36, off, s[60:63], 0 offset:4
	buffer_load_dword v37, off, s[60:63], 0 offset:8
	;; [unrolled: 1-line block ×8, first 2 shown]
	v_fma_f64 v[12:13], v[122:123], s[20:21], v[166:167]
	v_mul_f64 v[6:7], v[130:131], s[38:39]
	buffer_store_dword v6, off, s[60:63], 0 offset:756 ; 4-byte Folded Spill
	buffer_store_dword v7, off, s[60:63], 0 offset:760 ; 4-byte Folded Spill
	v_mul_f64 v[240:241], v[130:131], s[40:41]
	v_mul_f64 v[202:203], v[130:131], s[44:45]
	;; [unrolled: 1-line block ×3, first 2 shown]
	v_add_f64 v[140:141], v[14:15], v[62:63]
	v_mul_f64 v[62:63], v[56:57], s[38:39]
	v_fma_f64 v[14:15], v[112:113], s[20:21], -v[170:171]
	s_waitcnt vmcnt(0)
	v_add_f64 v[132:133], v[42:43], -v[38:39]
	v_add_f64 v[134:135], v[40:41], -v[36:37]
	v_add_f64 v[148:149], v[40:41], v[36:37]
	v_add_f64 v[150:151], v[42:43], v[38:39]
	s_clause 0x7
	buffer_load_dword v40, off, s[60:63], 0 offset:20
	buffer_load_dword v41, off, s[60:63], 0 offset:24
	;; [unrolled: 1-line block ×8, first 2 shown]
	v_fma_f64 v[36:37], v[122:123], s[22:23], -v[8:9]
	v_fma_f64 v[38:39], v[112:113], s[22:23], v[10:11]
	v_fma_f64 v[32:33], v[136:137], s[2:3], v[62:63]
	v_add_f64 v[178:179], v[14:15], v[154:155]
	v_add_f64 v[154:155], v[20:21], v[162:163]
	v_mul_f64 v[48:49], v[132:133], s[40:41]
	v_mul_f64 v[50:51], v[134:135], s[40:41]
	buffer_store_dword v48, off, s[60:63], 0 offset:772 ; 4-byte Folded Spill
	buffer_store_dword v49, off, s[60:63], 0 offset:776 ; 4-byte Folded Spill
	;; [unrolled: 1-line block ×4, first 2 shown]
	v_fma_f64 v[34:35], v[140:141], s[2:3], -v[6:7]
	v_add_f64 v[6:7], v[0:1], v[124:125]
	v_add_f64 v[0:1], v[2:3], v[158:159]
	;; [unrolled: 1-line block ×3, first 2 shown]
	v_fma_f64 v[4:5], v[122:123], s[22:23], v[8:9]
	v_add_f64 v[122:123], v[22:23], v[160:161]
	v_add_f64 v[126:127], v[26:27], v[168:169]
	;; [unrolled: 1-line block ×5, first 2 shown]
	v_mul_f64 v[8:9], v[142:143], s[36:37]
	v_mul_f64 v[12:13], v[138:139], s[36:37]
	v_fma_f64 v[14:15], v[68:69], s[20:21], -v[28:29]
	v_fma_f64 v[20:21], v[70:71], s[20:21], v[30:31]
	v_add_f64 v[152:153], v[36:37], v[114:115]
	v_add_f64 v[146:147], v[38:39], v[116:117]
	v_fma_f64 v[28:29], v[68:69], s[20:21], v[28:29]
	v_fma_f64 v[30:31], v[70:71], s[20:21], -v[30:31]
	v_mul_f64 v[248:249], v[134:135], s[50:51]
	v_mul_f64 v[128:129], v[132:133], s[30:31]
	;; [unrolled: 1-line block ×3, first 2 shown]
	v_add_f64 v[24:25], v[18:19], v[34:35]
	v_mul_f64 v[34:35], v[138:139], s[34:35]
	v_add_f64 v[144:145], v[4:5], v[118:119]
	v_fma_f64 v[4:5], v[112:113], s[22:23], -v[10:11]
	v_mul_f64 v[10:11], v[142:143], s[34:35]
	v_fma_f64 v[36:37], v[68:69], s[2:3], -v[8:9]
	v_fma_f64 v[38:39], v[70:71], s[2:3], v[12:13]
	v_fma_f64 v[8:9], v[68:69], s[2:3], v[8:9]
	v_fma_f64 v[12:13], v[70:71], s[2:3], -v[12:13]
	v_add_f64 v[76:77], v[14:15], v[108:109]
	v_add_f64 v[78:79], v[20:21], v[110:111]
	v_mul_f64 v[14:15], v[142:143], s[52:53]
	v_mul_f64 v[20:21], v[138:139], s[52:53]
	v_add_f64 v[72:73], v[28:29], v[104:105]
	v_add_f64 v[74:75], v[30:31], v[106:107]
	v_fma_f64 v[30:31], v[70:71], s[18:19], v[34:35]
	v_add_f64 v[4:5], v[4:5], v[120:121]
	v_fma_f64 v[28:29], v[68:69], s[18:19], -v[10:11]
	v_add_f64 v[84:85], v[36:37], v[84:85]
	v_add_f64 v[86:87], v[38:39], v[86:87]
	;; [unrolled: 1-line block ×4, first 2 shown]
	v_fma_f64 v[8:9], v[68:69], s[18:19], v[10:11]
	v_fma_f64 v[10:11], v[70:71], s[18:19], -v[34:35]
	v_fma_f64 v[12:13], v[68:69], s[0:1], -v[14:15]
	v_fma_f64 v[34:35], v[70:71], s[0:1], v[20:21]
	v_mul_f64 v[36:37], v[142:143], s[28:29]
	v_mul_f64 v[38:39], v[138:139], s[28:29]
	v_fma_f64 v[14:15], v[68:69], s[0:1], v[14:15]
	v_fma_f64 v[20:21], v[70:71], s[0:1], -v[20:21]
	v_add_f64 v[90:91], v[30:31], v[90:91]
	v_add_f64 v[88:89], v[28:29], v[88:89]
	;; [unrolled: 1-line block ×6, first 2 shown]
	v_fma_f64 v[8:9], v[68:69], s[14:15], -v[36:37]
	v_fma_f64 v[12:13], v[68:69], s[14:15], v[36:37]
	v_fma_f64 v[28:29], v[70:71], s[14:15], -v[38:39]
	v_mul_f64 v[36:37], v[142:143], s[26:27]
	v_fma_f64 v[10:11], v[70:71], s[14:15], v[38:39]
	v_mul_f64 v[38:39], v[138:139], s[26:27]
	v_add_f64 v[100:101], v[14:15], v[100:101]
	v_add_f64 v[102:103], v[20:21], v[102:103]
	;; [unrolled: 1-line block ×5, first 2 shown]
	v_fma_f64 v[6:7], v[68:69], s[22:23], v[36:37]
	v_add_f64 v[110:111], v[10:11], v[176:177]
	v_fma_f64 v[8:9], v[70:71], s[22:23], -v[38:39]
	v_mul_f64 v[10:11], v[142:143], s[54:55]
	v_mul_f64 v[12:13], v[138:139], s[54:55]
	;; [unrolled: 1-line block ×4, first 2 shown]
	v_add_f64 v[124:125], v[6:7], v[124:125]
	v_add_f64 v[126:127], v[8:9], v[126:127]
	v_fma_f64 v[6:7], v[68:69], s[12:13], v[10:11]
	v_fma_f64 v[8:9], v[70:71], s[12:13], -v[12:13]
	s_waitcnt vmcnt(0)
	v_add_f64 v[166:167], v[46:47], -v[42:43]
	v_add_f64 v[174:175], v[44:45], -v[40:41]
	v_add_f64 v[162:163], v[44:45], v[40:41]
	v_add_f64 v[164:165], v[46:47], v[42:43]
	s_clause 0x7
	buffer_load_dword v40, off, s[60:63], 0 offset:36
	buffer_load_dword v41, off, s[60:63], 0 offset:40
	;; [unrolled: 1-line block ×8, first 2 shown]
	v_mul_f64 v[242:243], v[166:167], s[48:49]
	v_mul_f64 v[250:251], v[174:175], s[48:49]
	;; [unrolled: 1-line block ×6, first 2 shown]
	v_fma_f64 v[26:27], v[148:149], s[0:1], v[48:49]
	v_fma_f64 v[32:33], v[150:151], s[0:1], -v[50:51]
	v_mul_f64 v[48:49], v[166:167], s[42:43]
	v_mul_f64 v[50:51], v[174:175], s[42:43]
	buffer_store_dword v48, off, s[60:63], 0 offset:788 ; 4-byte Folded Spill
	buffer_store_dword v49, off, s[60:63], 0 offset:792 ; 4-byte Folded Spill
	;; [unrolled: 1-line block ×4, first 2 shown]
	v_add_f64 v[22:23], v[26:27], v[22:23]
	v_add_f64 v[24:25], v[32:33], v[24:25]
	s_waitcnt vmcnt(0)
	v_add_f64 v[172:173], v[46:47], -v[42:43]
	v_add_f64 v[180:181], v[44:45], -v[40:41]
	v_add_f64 v[168:169], v[44:45], v[40:41]
	v_add_f64 v[170:171], v[46:47], v[42:43]
	v_mul_f64 v[40:41], v[142:143], s[30:31]
	v_mul_f64 v[42:43], v[138:139], s[30:31]
	;; [unrolled: 1-line block ×7, first 2 shown]
	v_fma_f64 v[30:31], v[68:69], s[24:25], -v[40:41]
	v_fma_f64 v[34:35], v[70:71], s[24:25], v[42:43]
	v_fma_f64 v[14:15], v[68:69], s[24:25], v[40:41]
	v_fma_f64 v[20:21], v[70:71], s[24:25], -v[42:43]
	v_mul_f64 v[42:43], v[56:57], s[40:41]
	v_mul_f64 v[176:177], v[180:181], s[42:43]
	;; [unrolled: 1-line block ×4, first 2 shown]
	v_add_f64 v[112:113], v[30:31], v[0:1]
	v_add_f64 v[114:115], v[34:35], v[2:3]
	v_fma_f64 v[0:1], v[68:69], s[22:23], -v[36:37]
	v_fma_f64 v[2:3], v[70:71], s[22:23], v[38:39]
	v_add_f64 v[116:117], v[14:15], v[158:159]
	v_add_f64 v[118:119], v[20:21], v[178:179]
	v_mul_f64 v[158:159], v[56:57], s[42:43]
	v_mul_f64 v[178:179], v[132:133], s[48:49]
	v_fma_f64 v[26:27], v[162:163], s[24:25], v[48:49]
	v_fma_f64 v[32:33], v[164:165], s[24:25], -v[50:51]
	s_clause 0x7
	buffer_load_dword v44, off, s[60:63], 0 offset:116
	buffer_load_dword v45, off, s[60:63], 0 offset:120
	;; [unrolled: 1-line block ×8, first 2 shown]
	buffer_store_dword v52, off, s[60:63], 0 offset:804 ; 4-byte Folded Spill
	buffer_store_dword v53, off, s[60:63], 0 offset:808 ; 4-byte Folded Spill
	;; [unrolled: 1-line block ×4, first 2 shown]
	v_add_f64 v[120:121], v[0:1], v[154:155]
	v_add_f64 v[122:123], v[2:3], v[122:123]
	v_fma_f64 v[0:1], v[68:69], s[12:13], -v[10:11]
	v_fma_f64 v[2:3], v[70:71], s[12:13], v[12:13]
	v_mul_f64 v[68:69], v[130:131], s[42:43]
	v_mul_f64 v[154:155], v[174:175], s[52:53]
	v_add_f64 v[22:23], v[26:27], v[22:23]
	v_add_f64 v[24:25], v[32:33], v[24:25]
	v_fma_f64 v[26:27], v[168:169], s[12:13], v[52:53]
	s_waitcnt vmcnt(0)
	v_add_f64 v[182:183], v[46:47], -v[50:51]
	v_add_f64 v[192:193], v[44:45], -v[48:49]
	v_add_f64 v[184:185], v[44:45], v[48:49]
	v_add_f64 v[186:187], v[46:47], v[50:51]
	s_clause 0x3
	buffer_load_dword v44, off, s[60:63], 0 offset:132
	buffer_load_dword v45, off, s[60:63], 0 offset:136
	buffer_load_dword v46, off, s[60:63], 0 offset:140
	buffer_load_dword v47, off, s[60:63], 0 offset:144
	v_fma_f64 v[32:33], v[170:171], s[12:13], -v[54:55]
	v_add_f64 v[22:23], v[26:27], v[22:23]
	v_mul_f64 v[48:49], v[182:183], s[26:27]
	v_mul_f64 v[50:51], v[192:193], s[26:27]
	buffer_store_dword v48, off, s[60:63], 0 offset:820 ; 4-byte Folded Spill
	buffer_store_dword v49, off, s[60:63], 0 offset:824 ; 4-byte Folded Spill
	;; [unrolled: 1-line block ×4, first 2 shown]
	v_add_f64 v[24:25], v[32:33], v[24:25]
	v_mul_f64 v[246:247], v[182:183], s[42:43]
	v_mul_f64 v[138:139], v[192:193], s[42:43]
	;; [unrolled: 1-line block ×6, first 2 shown]
	s_waitcnt vmcnt(0)
	v_add_f64 v[198:199], v[46:47], -v[66:67]
	v_add_f64 v[206:207], v[44:45], -v[64:65]
	v_add_f64 v[194:195], v[44:45], v[64:65]
	v_add_f64 v[196:197], v[46:47], v[66:67]
	v_mul_f64 v[52:53], v[198:199], s[28:29]
	v_mul_f64 v[54:55], v[206:207], s[28:29]
	v_fma_f64 v[26:27], v[184:185], s[22:23], v[48:49]
	v_fma_f64 v[32:33], v[186:187], s[22:23], -v[50:51]
	s_clause 0x7
	buffer_load_dword v44, off, s[60:63], 0 offset:148
	buffer_load_dword v45, off, s[60:63], 0 offset:152
	;; [unrolled: 1-line block ×8, first 2 shown]
	buffer_store_dword v52, off, s[60:63], 0 offset:836 ; 4-byte Folded Spill
	buffer_store_dword v53, off, s[60:63], 0 offset:840 ; 4-byte Folded Spill
	;; [unrolled: 1-line block ×4, first 2 shown]
	v_add_f64 v[22:23], v[26:27], v[22:23]
	v_add_f64 v[24:25], v[32:33], v[24:25]
	s_clause 0x7
	buffer_load_dword v30, off, s[60:63], 0 offset:180
	buffer_load_dword v31, off, s[60:63], 0 offset:184
	;; [unrolled: 1-line block ×8, first 2 shown]
	s_waitcnt vmcnt(8)
	v_add_f64 v[200:201], v[46:47], -v[50:51]
	v_add_f64 v[218:219], v[44:45], -v[48:49]
	v_fma_f64 v[26:27], v[194:195], s[14:15], v[52:53]
	v_fma_f64 v[28:29], v[196:197], s[14:15], -v[54:55]
	v_add_f64 v[208:209], v[44:45], v[48:49]
	v_add_f64 v[210:211], v[46:47], v[50:51]
	;; [unrolled: 1-line block ×6, first 2 shown]
	v_mul_f64 v[44:45], v[132:133], s[50:51]
	v_mul_f64 v[146:147], v[134:135], s[46:47]
	;; [unrolled: 1-line block ×6, first 2 shown]
	s_waitcnt vmcnt(0)
	v_add_f64 v[212:213], v[32:33], -v[36:37]
	v_add_f64 v[252:253], v[30:31], -v[34:35]
	v_add_f64 v[10:11], v[26:27], v[22:23]
	v_add_f64 v[12:13], v[28:29], v[24:25]
	buffer_store_dword v38, off, s[60:63], 0 offset:868 ; 4-byte Folded Spill
	buffer_store_dword v39, off, s[60:63], 0 offset:872 ; 4-byte Folded Spill
	;; [unrolled: 1-line block ×4, first 2 shown]
	v_mul_f64 v[22:23], v[212:213], s[50:51]
	v_mul_f64 v[24:25], v[252:253], s[50:51]
	buffer_store_dword v42, off, s[60:63], 0 offset:1408 ; 4-byte Folded Spill
	buffer_store_dword v43, off, s[60:63], 0 offset:1412 ; 4-byte Folded Spill
	;; [unrolled: 1-line block ×6, first 2 shown]
	v_add_f64 v[220:221], v[30:31], v[34:35]
	v_add_f64 v[222:223], v[32:33], v[36:37]
	v_mul_f64 v[30:31], v[130:131], s[28:29]
	v_mul_f64 v[224:225], v[252:253], s[30:31]
	v_fma_f64 v[14:15], v[208:209], s[18:19], v[38:39]
	v_fma_f64 v[20:21], v[210:211], s[18:19], -v[40:41]
	v_fma_f64 v[0:1], v[136:137], s[0:1], v[42:43]
	v_mul_f64 v[42:43], v[130:131], s[34:35]
	v_add_f64 v[2:3], v[14:15], v[10:11]
	v_add_f64 v[4:5], v[20:21], v[12:13]
	v_fma_f64 v[6:7], v[220:221], s[20:21], v[22:23]
	v_fma_f64 v[8:9], v[222:223], s[20:21], -v[24:25]
	v_mul_f64 v[12:13], v[132:133], s[44:45]
	v_add_f64 v[0:1], v[16:17], v[0:1]
	v_fma_f64 v[10:11], v[140:141], s[0:1], -v[240:241]
	v_mul_f64 v[14:15], v[56:57], s[26:27]
	v_mul_f64 v[24:25], v[56:57], s[28:29]
	v_add_f64 v[2:3], v[6:7], v[2:3]
	v_add_f64 v[4:5], v[8:9], v[4:5]
	buffer_store_dword v2, off, s[60:63], 0 offset:228 ; 4-byte Folded Spill
	buffer_store_dword v3, off, s[60:63], 0 offset:232 ; 4-byte Folded Spill
	;; [unrolled: 1-line block ×6, first 2 shown]
	v_mul_f64 v[6:7], v[134:135], s[44:45]
	buffer_store_dword v6, off, s[60:63], 0 offset:1384 ; 4-byte Folded Spill
	buffer_store_dword v7, off, s[60:63], 0 offset:1388 ; 4-byte Folded Spill
	v_add_f64 v[4:5], v[18:19], v[10:11]
	v_fma_f64 v[2:3], v[148:149], s[12:13], v[12:13]
	v_add_f64 v[0:1], v[2:3], v[0:1]
	v_fma_f64 v[2:3], v[150:151], s[12:13], -v[6:7]
	v_add_f64 v[2:3], v[2:3], v[4:5]
	v_mul_f64 v[4:5], v[166:167], s[28:29]
	buffer_store_dword v4, off, s[60:63], 0 offset:1320 ; 4-byte Folded Spill
	buffer_store_dword v5, off, s[60:63], 0 offset:1324 ; 4-byte Folded Spill
	v_fma_f64 v[4:5], v[162:163], s[14:15], v[4:5]
	v_add_f64 v[0:1], v[4:5], v[0:1]
	v_mul_f64 v[4:5], v[174:175], s[28:29]
	buffer_store_dword v4, off, s[60:63], 0 offset:1352 ; 4-byte Folded Spill
	buffer_store_dword v5, off, s[60:63], 0 offset:1356 ; 4-byte Folded Spill
	v_fma_f64 v[4:5], v[164:165], s[14:15], -v[4:5]
	v_add_f64 v[2:3], v[4:5], v[2:3]
	v_mul_f64 v[4:5], v[172:173], s[50:51]
	buffer_store_dword v4, off, s[60:63], 0 offset:1204 ; 4-byte Folded Spill
	buffer_store_dword v5, off, s[60:63], 0 offset:1208 ; 4-byte Folded Spill
	v_fma_f64 v[4:5], v[168:169], s[20:21], v[4:5]
	v_add_f64 v[0:1], v[4:5], v[0:1]
	v_mul_f64 v[4:5], v[180:181], s[50:51]
	buffer_store_dword v4, off, s[60:63], 0 offset:1240 ; 4-byte Folded Spill
	buffer_store_dword v5, off, s[60:63], 0 offset:1244 ; 4-byte Folded Spill
	;; [unrolled: 10-line block ×6, first 2 shown]
	v_fma_f64 v[0:1], v[222:223], s[2:3], -v[0:1]
	v_add_f64 v[6:7], v[0:1], v[2:3]
	v_mul_f64 v[2:3], v[132:133], s[28:29]
	buffer_store_dword v4, off, s[60:63], 0 offset:244 ; 4-byte Folded Spill
	buffer_store_dword v5, off, s[60:63], 0 offset:248 ; 4-byte Folded Spill
	;; [unrolled: 1-line block ×6, first 2 shown]
	v_mul_f64 v[4:5], v[134:135], s[28:29]
	buffer_store_dword v4, off, s[60:63], 0 offset:1416 ; 4-byte Folded Spill
	buffer_store_dword v5, off, s[60:63], 0 offset:1420 ; 4-byte Folded Spill
	v_fma_f64 v[0:1], v[136:137], s[24:25], v[158:159]
	v_add_f64 v[0:1], v[16:17], v[0:1]
	v_fma_f64 v[2:3], v[148:149], s[14:15], v[2:3]
	v_add_f64 v[0:1], v[2:3], v[0:1]
	v_fma_f64 v[2:3], v[140:141], s[24:25], -v[68:69]
	v_fma_f64 v[4:5], v[150:151], s[14:15], -v[4:5]
	v_add_f64 v[2:3], v[18:19], v[2:3]
	v_add_f64 v[2:3], v[4:5], v[2:3]
	v_mul_f64 v[4:5], v[166:167], s[56:57]
	buffer_store_dword v4, off, s[60:63], 0 offset:1392 ; 4-byte Folded Spill
	buffer_store_dword v5, off, s[60:63], 0 offset:1396 ; 4-byte Folded Spill
	v_fma_f64 v[4:5], v[162:163], s[20:21], v[4:5]
	v_add_f64 v[0:1], v[4:5], v[0:1]
	v_mul_f64 v[4:5], v[174:175], s[56:57]
	buffer_store_dword v4, off, s[60:63], 0 offset:1424 ; 4-byte Folded Spill
	buffer_store_dword v5, off, s[60:63], 0 offset:1428 ; 4-byte Folded Spill
	v_fma_f64 v[4:5], v[164:165], s[20:21], -v[4:5]
	v_add_f64 v[2:3], v[4:5], v[2:3]
	v_mul_f64 v[4:5], v[172:173], s[48:49]
	buffer_store_dword v4, off, s[60:63], 0 offset:1368 ; 4-byte Folded Spill
	buffer_store_dword v5, off, s[60:63], 0 offset:1372 ; 4-byte Folded Spill
	v_fma_f64 v[4:5], v[168:169], s[22:23], v[4:5]
	v_add_f64 v[0:1], v[4:5], v[0:1]
	v_mul_f64 v[4:5], v[180:181], s[48:49]
	buffer_store_dword v4, off, s[60:63], 0 offset:1440 ; 4-byte Folded Spill
	buffer_store_dword v5, off, s[60:63], 0 offset:1444 ; 4-byte Folded Spill
	v_fma_f64 v[4:5], v[170:171], s[22:23], -v[4:5]
	;; [unrolled: 10-line block ×6, first 2 shown]
	v_add_f64 v[6:7], v[0:1], v[2:3]
	v_fma_f64 v[0:1], v[136:137], s[12:13], v[188:189]
	v_fma_f64 v[2:3], v[148:149], s[20:21], v[44:45]
	buffer_store_dword v4, off, s[60:63], 0 offset:260 ; 4-byte Folded Spill
	buffer_store_dword v5, off, s[60:63], 0 offset:264 ; 4-byte Folded Spill
	;; [unrolled: 1-line block ×4, first 2 shown]
	v_add_f64 v[0:1], v[16:17], v[0:1]
	v_fma_f64 v[4:5], v[150:151], s[20:21], -v[248:249]
	v_add_f64 v[0:1], v[2:3], v[0:1]
	v_fma_f64 v[2:3], v[140:141], s[12:13], -v[202:203]
	v_add_f64 v[2:3], v[18:19], v[2:3]
	v_add_f64 v[2:3], v[4:5], v[2:3]
	v_fma_f64 v[4:5], v[162:163], s[22:23], v[242:243]
	v_add_f64 v[0:1], v[4:5], v[0:1]
	v_fma_f64 v[4:5], v[164:165], s[22:23], -v[250:251]
	v_add_f64 v[2:3], v[4:5], v[2:3]
	v_fma_f64 v[4:5], v[168:169], s[2:3], v[244:245]
	v_add_f64 v[0:1], v[4:5], v[0:1]
	v_fma_f64 v[4:5], v[170:171], s[2:3], -v[254:255]
	;; [unrolled: 4-line block ×3, first 2 shown]
	v_add_f64 v[2:3], v[4:5], v[2:3]
	v_mul_f64 v[4:5], v[198:199], s[34:35]
	buffer_store_dword v4, off, s[60:63], 0 offset:1256 ; 4-byte Folded Spill
	buffer_store_dword v5, off, s[60:63], 0 offset:1260 ; 4-byte Folded Spill
	v_fma_f64 v[4:5], v[194:195], s[18:19], v[4:5]
	v_add_f64 v[0:1], v[4:5], v[0:1]
	v_mul_f64 v[4:5], v[206:207], s[34:35]
	buffer_store_dword v4, off, s[60:63], 0 offset:1272 ; 4-byte Folded Spill
	buffer_store_dword v5, off, s[60:63], 0 offset:1276 ; 4-byte Folded Spill
	v_fma_f64 v[4:5], v[196:197], s[18:19], -v[4:5]
	v_add_f64 v[2:3], v[4:5], v[2:3]
	v_mul_f64 v[4:5], v[200:201], s[58:59]
	buffer_store_dword v4, off, s[60:63], 0 offset:1188 ; 4-byte Folded Spill
	buffer_store_dword v5, off, s[60:63], 0 offset:1192 ; 4-byte Folded Spill
	v_fma_f64 v[4:5], v[208:209], s[14:15], v[4:5]
	v_add_f64 v[0:1], v[4:5], v[0:1]
	v_mul_f64 v[4:5], v[218:219], s[58:59]
	buffer_store_dword v4, off, s[60:63], 0 offset:1220 ; 4-byte Folded Spill
	buffer_store_dword v5, off, s[60:63], 0 offset:1224 ; 4-byte Folded Spill
	v_fma_f64 v[4:5], v[210:211], s[14:15], -v[4:5]
	;; [unrolled: 10-line block ×3, first 2 shown]
	v_add_f64 v[6:7], v[0:1], v[2:3]
	v_fma_f64 v[0:1], v[136:137], s[22:23], v[14:15]
	v_fma_f64 v[2:3], v[148:149], s[18:19], v[142:143]
	buffer_store_dword v4, off, s[60:63], 0 offset:276 ; 4-byte Folded Spill
	buffer_store_dword v5, off, s[60:63], 0 offset:280 ; 4-byte Folded Spill
	;; [unrolled: 1-line block ×4, first 2 shown]
	v_add_f64 v[0:1], v[16:17], v[0:1]
	v_fma_f64 v[4:5], v[150:151], s[18:19], -v[146:147]
	v_add_f64 v[0:1], v[2:3], v[0:1]
	v_fma_f64 v[2:3], v[140:141], s[22:23], -v[226:227]
	v_add_f64 v[2:3], v[18:19], v[2:3]
	v_add_f64 v[2:3], v[4:5], v[2:3]
	v_fma_f64 v[4:5], v[162:163], s[0:1], v[144:145]
	v_add_f64 v[0:1], v[4:5], v[0:1]
	v_fma_f64 v[4:5], v[164:165], s[0:1], -v[154:155]
	v_add_f64 v[2:3], v[4:5], v[2:3]
	v_fma_f64 v[4:5], v[168:169], s[24:25], v[152:153]
	v_add_f64 v[0:1], v[4:5], v[0:1]
	v_fma_f64 v[4:5], v[170:171], s[24:25], -v[176:177]
	;; [unrolled: 4-line block ×3, first 2 shown]
	v_add_f64 v[2:3], v[4:5], v[2:3]
	v_mul_f64 v[4:5], v[198:199], s[54:55]
	buffer_store_dword v4, off, s[60:63], 0 offset:1360 ; 4-byte Folded Spill
	buffer_store_dword v5, off, s[60:63], 0 offset:1364 ; 4-byte Folded Spill
	v_fma_f64 v[4:5], v[194:195], s[12:13], v[4:5]
	v_add_f64 v[0:1], v[4:5], v[0:1]
	v_mul_f64 v[4:5], v[206:207], s[54:55]
	buffer_store_dword v4, off, s[60:63], 0 offset:1376 ; 4-byte Folded Spill
	buffer_store_dword v5, off, s[60:63], 0 offset:1380 ; 4-byte Folded Spill
	v_fma_f64 v[4:5], v[196:197], s[12:13], -v[4:5]
	v_add_f64 v[2:3], v[4:5], v[2:3]
	v_mul_f64 v[4:5], v[200:201], s[38:39]
	buffer_store_dword v4, off, s[60:63], 0 offset:1328 ; 4-byte Folded Spill
	buffer_store_dword v5, off, s[60:63], 0 offset:1332 ; 4-byte Folded Spill
	v_fma_f64 v[4:5], v[208:209], s[2:3], v[4:5]
	v_add_f64 v[0:1], v[4:5], v[0:1]
	v_mul_f64 v[4:5], v[218:219], s[38:39]
	buffer_store_dword v4, off, s[60:63], 0 offset:1336 ; 4-byte Folded Spill
	buffer_store_dword v5, off, s[60:63], 0 offset:1340 ; 4-byte Folded Spill
	v_fma_f64 v[4:5], v[210:211], s[2:3], -v[4:5]
	;; [unrolled: 10-line block ×3, first 2 shown]
	v_add_f64 v[6:7], v[0:1], v[2:3]
	v_fma_f64 v[0:1], v[136:137], s[14:15], v[24:25]
	v_fma_f64 v[2:3], v[148:149], s[22:23], v[178:179]
	buffer_store_dword v4, off, s[60:63], 0 offset:292 ; 4-byte Folded Spill
	buffer_store_dword v5, off, s[60:63], 0 offset:296 ; 4-byte Folded Spill
	;; [unrolled: 1-line block ×4, first 2 shown]
	v_add_f64 v[0:1], v[16:17], v[0:1]
	v_fma_f64 v[4:5], v[150:151], s[22:23], -v[156:157]
	v_add_f64 v[0:1], v[2:3], v[0:1]
	v_fma_f64 v[2:3], v[140:141], s[14:15], -v[30:31]
	v_add_f64 v[2:3], v[18:19], v[2:3]
	v_add_f64 v[2:3], v[4:5], v[2:3]
	v_fma_f64 v[4:5], v[162:163], s[2:3], v[190:191]
	v_add_f64 v[0:1], v[4:5], v[0:1]
	v_fma_f64 v[4:5], v[164:165], s[2:3], -v[216:217]
	v_add_f64 v[4:5], v[4:5], v[2:3]
	v_fma_f64 v[2:3], v[168:169], s[18:19], v[204:205]
	v_add_f64 v[0:1], v[2:3], v[0:1]
	v_mul_f64 v[2:3], v[180:181], s[34:35]
	v_fma_f64 v[6:7], v[170:171], s[18:19], -v[2:3]
	v_add_f64 v[4:5], v[6:7], v[4:5]
	v_fma_f64 v[6:7], v[184:185], s[12:13], v[214:215]
	v_add_f64 v[8:9], v[6:7], v[0:1]
	v_mul_f64 v[6:7], v[192:193], s[54:55]
	v_fma_f64 v[0:1], v[186:187], s[12:13], -v[6:7]
	v_add_f64 v[4:5], v[0:1], v[4:5]
	v_mul_f64 v[0:1], v[198:199], s[40:41]
	v_fma_f64 v[10:11], v[194:195], s[0:1], v[0:1]
	v_add_f64 v[8:9], v[10:11], v[8:9]
	v_mul_f64 v[10:11], v[206:207], s[40:41]
	v_fma_f64 v[12:13], v[196:197], s[0:1], -v[10:11]
	v_add_f64 v[20:21], v[12:13], v[4:5]
	v_mul_f64 v[4:5], v[200:201], s[50:51]
	;; [unrolled: 6-line block ×3, first 2 shown]
	v_fma_f64 v[26:27], v[220:221], s[24:25], v[8:9]
	v_add_f64 v[26:27], v[26:27], v[22:23]
	v_fma_f64 v[22:23], v[222:223], s[24:25], -v[224:225]
	v_add_f64 v[28:29], v[22:23], v[20:21]
	buffer_store_dword v26, off, s[60:63], 0 offset:308 ; 4-byte Folded Spill
	buffer_store_dword v27, off, s[60:63], 0 offset:312 ; 4-byte Folded Spill
	;; [unrolled: 1-line block ×6, first 2 shown]
	v_fma_f64 v[22:23], v[148:149], s[24:25], v[128:129]
	v_fma_f64 v[26:27], v[150:151], s[24:25], -v[232:233]
	v_mul_f64 v[40:41], v[56:57], s[34:35]
	v_fma_f64 v[20:21], v[136:137], s[18:19], v[40:41]
	v_add_f64 v[20:21], v[16:17], v[20:21]
	v_add_f64 v[20:21], v[22:23], v[20:21]
	v_fma_f64 v[22:23], v[140:141], s[18:19], -v[42:43]
	v_add_f64 v[22:23], v[18:19], v[22:23]
	v_add_f64 v[22:23], v[26:27], v[22:23]
	v_fma_f64 v[26:27], v[162:163], s[12:13], v[228:229]
	v_add_f64 v[20:21], v[26:27], v[20:21]
	v_fma_f64 v[26:27], v[164:165], s[12:13], -v[236:237]
	v_add_f64 v[26:27], v[26:27], v[22:23]
	v_fma_f64 v[22:23], v[168:169], s[14:15], v[230:231]
	v_add_f64 v[20:21], v[22:23], v[20:21]
	v_mul_f64 v[22:23], v[180:181], s[58:59]
	v_fma_f64 v[28:29], v[170:171], s[14:15], -v[22:23]
	v_add_f64 v[26:27], v[28:29], v[26:27]
	v_fma_f64 v[28:29], v[184:185], s[2:3], v[234:235]
	v_add_f64 v[32:33], v[28:29], v[20:21]
	v_mul_f64 v[28:29], v[192:193], s[38:39]
	v_fma_f64 v[20:21], v[186:187], s[2:3], -v[28:29]
	v_add_f64 v[26:27], v[20:21], v[26:27]
	v_mul_f64 v[20:21], v[198:199], s[50:51]
	v_fma_f64 v[34:35], v[194:195], s[20:21], v[20:21]
	v_add_f64 v[32:33], v[34:35], v[32:33]
	v_mul_f64 v[34:35], v[206:207], s[50:51]
	v_fma_f64 v[36:37], v[196:197], s[20:21], -v[34:35]
	v_add_f64 v[38:39], v[36:37], v[26:27]
	v_mul_f64 v[26:27], v[200:201], s[52:53]
	;; [unrolled: 6-line block ×3, first 2 shown]
	v_fma_f64 v[38:39], v[220:221], s[22:23], v[32:33]
	v_add_f64 v[58:59], v[38:39], v[54:55]
	v_mul_f64 v[38:39], v[252:253], s[26:27]
	v_fma_f64 v[54:55], v[222:223], s[22:23], -v[38:39]
	v_add_f64 v[60:61], v[54:55], v[56:57]
	buffer_store_dword v58, off, s[60:63], 0 offset:324 ; 4-byte Folded Spill
	buffer_store_dword v59, off, s[60:63], 0 offset:328 ; 4-byte Folded Spill
	;; [unrolled: 1-line block ×4, first 2 shown]
	buffer_load_dword v55, off, s[60:63], 0 ; 4-byte Folded Reload
	v_mov_b32_e32 v56, 4
	s_waitcnt vmcnt(0)
	s_waitcnt_vscnt null, 0x0
	s_barrier
	buffer_gl0_inv
	v_mul_lo_u16 v54, v55, 17
	v_lshlrev_b32_sdwa v239, v56, v54 dst_sel:DWORD dst_unused:UNUSED_PAD src0_sel:DWORD src1_sel:WORD_0
	s_clause 0x3
	buffer_load_dword v56, off, s[60:63], 0 offset:708
	buffer_load_dword v57, off, s[60:63], 0 offset:712
	;; [unrolled: 1-line block ×4, first 2 shown]
	s_waitcnt vmcnt(0)
	ds_write_b128 v239, v[56:59]
	ds_write_b128 v239, v[76:79] offset:16
	ds_write_b128 v239, v[84:87] offset:32
	;; [unrolled: 1-line block ×16, first 2 shown]
	v_add_co_u32 v47, s33, v55, 51
	v_add_co_ci_u32_e64 v46, null, 0, 0, s33
	v_mul_u32_u24_e32 v46, 17, v47
	buffer_store_dword v46, off, s[60:63], 0 offset:1236 ; 4-byte Folded Spill
	s_and_saveexec_b32 s33, vcc_lo
	s_cbranch_execz .LBB0_7
; %bb.6:
	buffer_store_dword v47, off, s[60:63], 0 offset:708 ; 4-byte Folded Spill
	s_clause 0x3
	buffer_load_dword v48, off, s[60:63], 0 offset:52
	buffer_load_dword v49, off, s[60:63], 0 offset:56
	;; [unrolled: 1-line block ×4, first 2 shown]
	v_mul_f64 v[60:61], v[140:141], s[24:25]
	v_mul_f64 v[54:55], v[140:141], s[18:19]
	v_mov_b32_e32 v79, v63
	v_mul_f64 v[56:57], v[136:137], s[22:23]
	v_mul_f64 v[58:59], v[136:137], s[12:13]
	v_mov_b32_e32 v78, v62
	v_mul_f64 v[62:63], v[136:137], s[24:25]
	v_mul_f64 v[76:77], v[136:137], s[2:3]
	;; [unrolled: 1-line block ×16, first 2 shown]
	v_add_f64 v[60:61], v[68:69], v[60:61]
	v_add_f64 v[42:43], v[42:43], v[54:55]
	v_mul_f64 v[54:55], v[136:137], s[18:19]
	v_add_f64 v[14:15], v[56:57], -v[14:15]
	v_add_f64 v[58:59], v[58:59], -v[188:189]
	v_mul_f64 v[108:109], v[168:169], s[14:15]
	v_add_f64 v[62:63], v[62:63], -v[158:159]
	v_add_f64 v[76:77], v[76:77], -v[78:79]
	v_add_f64 v[38:39], v[38:39], v[102:103]
	v_mul_f64 v[102:103], v[210:211], s[0:1]
	v_add_f64 v[12:13], v[12:13], v[116:117]
	v_mul_f64 v[116:117], v[196:197], s[0:1]
	v_fma_f64 v[100:101], v[134:135], s[38:39], v[98:99]
	v_fma_f64 v[98:99], v[134:135], s[36:37], v[98:99]
	;; [unrolled: 1-line block ×4, first 2 shown]
	v_add_f64 v[104:105], v[232:233], v[104:105]
	v_add_f64 v[106:107], v[106:107], -v[32:33]
	v_mul_f64 v[32:33], v[208:209], s[0:1]
	v_add_f64 v[112:113], v[112:113], -v[128:129]
	v_add_f64 v[118:119], v[156:157], v[118:119]
	v_add_f64 v[8:9], v[120:121], -v[8:9]
	v_mul_f64 v[120:121], v[208:209], s[20:21]
	v_add_f64 v[42:43], v[18:19], v[42:43]
	v_add_f64 v[40:41], v[54:55], -v[40:41]
	v_mul_f64 v[54:55], v[140:141], s[14:15]
	v_add_f64 v[14:15], v[16:17], v[14:15]
	v_add_f64 v[58:59], v[16:17], v[58:59]
	;; [unrolled: 1-line block ×3, first 2 shown]
	v_add_f64 v[126:127], v[126:127], -v[178:179]
	v_fma_f64 v[92:93], v[180:181], s[40:41], v[90:91]
	v_add_f64 v[36:37], v[36:37], v[102:103]
	v_mul_f64 v[102:103], v[196:197], s[20:21]
	v_add_f64 v[10:11], v[10:11], v[116:117]
	v_mul_f64 v[116:117], v[186:187], s[12:13]
	v_fma_f64 v[90:91], v[180:181], s[52:53], v[90:91]
	v_add_f64 v[110:111], v[110:111], -v[228:229]
	v_mul_f64 v[122:123], v[168:169], s[18:19]
	v_add_f64 v[124:125], v[124:125], -v[190:191]
	v_mul_f64 v[82:83], v[196:197], s[24:25]
	;; [unrolled: 2-line block ×3, first 2 shown]
	v_fma_f64 v[88:89], v[192:193], s[58:59], v[86:87]
	v_fma_f64 v[86:87], v[192:193], s[28:29], v[86:87]
	v_add_f64 v[4:5], v[120:121], -v[4:5]
	v_mul_f64 v[120:121], v[194:195], s[0:1]
	v_add_f64 v[40:41], v[16:17], v[40:41]
	v_add_f64 v[30:31], v[30:31], v[54:55]
	v_mul_f64 v[54:55], v[136:137], s[14:15]
	v_add_f64 v[42:43], v[104:105], v[42:43]
	v_add_f64 v[108:109], v[108:109], -v[230:231]
	v_mul_f64 v[134:135], v[150:151], s[18:19]
	v_mul_f64 v[128:129], v[186:187], s[20:21]
	;; [unrolled: 1-line block ×3, first 2 shown]
	v_add_f64 v[34:35], v[34:35], v[102:103]
	v_mul_f64 v[102:103], v[186:187], s[2:3]
	v_add_f64 v[6:7], v[6:7], v[116:117]
	v_mul_f64 v[116:117], v[170:171], s[18:19]
	v_add_f64 v[60:61], v[18:19], v[60:61]
	v_add_f64 v[122:123], v[122:123], -v[204:205]
	v_mul_f64 v[104:105], v[194:195], s[12:13]
	v_fma_f64 v[84:85], v[206:207], s[42:43], v[82:83]
	v_fma_f64 v[82:83], v[206:207], s[30:31], v[82:83]
	v_add_f64 v[20:21], v[32:33], -v[20:21]
	v_mul_f64 v[32:33], v[184:185], s[2:3]
	v_mul_f64 v[114:115], v[222:223], s[24:25]
	v_add_f64 v[0:1], v[120:121], -v[0:1]
	v_add_f64 v[40:41], v[112:113], v[40:41]
	v_add_f64 v[30:31], v[18:19], v[30:31]
	v_add_f64 v[24:25], v[54:55], -v[24:25]
	v_mul_f64 v[120:121], v[184:185], s[12:13]
	v_mul_f64 v[54:55], v[140:141], s[22:23]
	v_add_f64 v[134:135], v[146:147], v[134:135]
	v_mul_f64 v[146:147], v[162:163], s[0:1]
	v_add_f64 v[70:71], v[70:71], v[128:129]
	;; [unrolled: 2-line block ×5, first 2 shown]
	v_add_f64 v[32:33], v[32:33], -v[234:235]
	v_add_f64 v[114:115], v[224:225], v[114:115]
	v_add_f64 v[40:41], v[110:111], v[40:41]
	;; [unrolled: 1-line block ×4, first 2 shown]
	v_add_f64 v[120:121], v[120:121], -v[214:215]
	v_add_f64 v[54:55], v[226:227], v[54:55]
	v_add_f64 v[144:145], v[146:147], -v[144:145]
	v_mul_f64 v[146:147], v[148:149], s[18:19]
	v_add_f64 v[128:129], v[176:177], v[128:129]
	v_add_f64 v[22:23], v[22:23], v[102:103]
	v_mul_f64 v[102:103], v[164:165], s[12:13]
	v_add_f64 v[116:117], v[216:217], v[116:117]
	v_add_f64 v[56:57], v[18:19], v[56:57]
	;; [unrolled: 1-line block ×3, first 2 shown]
	v_mul_f64 v[108:109], v[196:197], s[12:13]
	v_add_f64 v[24:25], v[126:127], v[24:25]
	v_mul_f64 v[126:127], v[210:211], s[2:3]
	v_add_f64 v[54:55], v[18:19], v[54:55]
	v_add_f64 v[142:143], v[146:147], -v[142:143]
	v_mul_f64 v[146:147], v[186:187], s[24:25]
	v_add_f64 v[102:103], v[236:237], v[102:103]
	v_add_f64 v[30:31], v[116:117], v[30:31]
	;; [unrolled: 1-line block ×3, first 2 shown]
	v_mul_f64 v[124:125], v[208:209], s[2:3]
	v_add_f64 v[54:55], v[134:135], v[54:55]
	v_add_f64 v[14:15], v[142:143], v[14:15]
	;; [unrolled: 1-line block ×3, first 2 shown]
	v_mul_f64 v[146:147], v[170:171], s[2:3]
	v_mul_f64 v[142:143], v[220:221], s[14:15]
	v_add_f64 v[42:43], v[102:103], v[42:43]
	v_add_f64 v[2:3], v[2:3], v[30:31]
	v_mul_f64 v[102:103], v[200:201], s[26:27]
	v_add_f64 v[24:25], v[122:123], v[24:25]
	v_add_f64 v[14:15], v[144:145], v[14:15]
	v_mul_f64 v[144:145], v[222:223], s[14:15]
	v_add_f64 v[146:147], v[254:255], v[146:147]
	v_add_f64 v[22:23], v[22:23], v[42:43]
	v_add_f64 v[2:3], v[6:7], v[2:3]
	v_add_f64 v[6:7], v[120:121], v[24:25]
	v_mul_f64 v[120:121], v[212:213], s[54:55]
	v_add_f64 v[22:23], v[28:29], v[22:23]
	v_add_f64 v[28:29], v[32:33], v[40:41]
	v_mul_f64 v[32:33], v[198:199], s[30:31]
	v_add_f64 v[2:3], v[10:11], v[2:3]
	v_add_f64 v[0:1], v[0:1], v[6:7]
	;; [unrolled: 1-line block ×3, first 2 shown]
	v_mul_f64 v[34:35], v[162:163], s[22:23]
	v_fma_f64 v[40:41], v[194:195], s[24:25], v[32:33]
	v_fma_f64 v[10:11], v[194:195], s[24:25], -v[32:33]
	v_mul_f64 v[32:33], v[148:149], s[20:21]
	v_add_f64 v[12:13], v[12:13], v[2:3]
	v_add_f64 v[20:21], v[20:21], v[28:29]
	v_mul_f64 v[28:29], v[184:185], s[24:25]
	v_add_f64 v[0:1], v[4:5], v[0:1]
	v_add_f64 v[22:23], v[36:37], v[22:23]
	v_add_f64 v[34:35], v[34:35], -v[242:243]
	v_mul_f64 v[36:37], v[168:169], s[2:3]
	v_add_f64 v[32:33], v[32:33], -v[44:45]
	v_add_f64 v[4:5], v[26:27], v[20:21]
	v_add_f64 v[28:29], v[28:29], -v[246:247]
	v_add_f64 v[36:37], v[36:37], -v[244:245]
	v_add_f64 v[32:33], v[32:33], v[58:59]
	v_add_f64 v[32:33], v[34:35], v[32:33]
	v_mul_f64 v[34:35], v[150:151], s[14:15]
	s_waitcnt vmcnt(0)
	v_add_f64 v[46:47], v[18:19], v[50:51]
	s_clause 0x3
	buffer_load_dword v50, off, s[60:63], 0 offset:68
	buffer_load_dword v51, off, s[60:63], 0 offset:72
	;; [unrolled: 1-line block ×4, first 2 shown]
	v_add_f64 v[48:49], v[16:17], v[48:49]
	v_add_f64 v[32:33], v[36:37], v[32:33]
	v_mul_f64 v[36:37], v[148:149], s[14:15]
	v_add_f64 v[28:29], v[28:29], v[32:33]
	s_waitcnt vmcnt(0)
	v_add_f64 v[46:47], v[46:47], v[52:53]
	v_add_f64 v[48:49], v[48:49], v[50:51]
	s_clause 0x3
	buffer_load_dword v50, off, s[60:63], 0 offset:84
	buffer_load_dword v51, off, s[60:63], 0 offset:88
	buffer_load_dword v52, off, s[60:63], 0 offset:92
	buffer_load_dword v53, off, s[60:63], 0 offset:96
	s_waitcnt vmcnt(0)
	v_add_f64 v[46:47], v[46:47], v[52:53]
	v_add_f64 v[48:49], v[48:49], v[50:51]
	s_clause 0x3
	buffer_load_dword v50, off, s[60:63], 0 offset:100
	buffer_load_dword v51, off, s[60:63], 0 offset:104
	buffer_load_dword v52, off, s[60:63], 0 offset:108
	buffer_load_dword v53, off, s[60:63], 0 offset:112
	;; [unrolled: 8-line block ×8, first 2 shown]
	buffer_load_dword v68, off, s[60:63], 0 offset:1408
	buffer_load_dword v69, off, s[60:63], 0 offset:1412
	;; [unrolled: 1-line block ×4, first 2 shown]
	s_waitcnt vmcnt(4)
	v_add_f64 v[46:47], v[46:47], v[52:53]
	v_add_f64 v[48:49], v[48:49], v[50:51]
	v_mul_f64 v[50:51], v[140:141], s[20:21]
	v_add_f64 v[46:47], v[46:47], v[66:67]
	v_mul_f64 v[66:67], v[136:137], s[0:1]
	v_fma_f64 v[52:53], v[130:131], s[56:57], v[50:51]
	v_fma_f64 v[50:51], v[130:131], s[50:51], v[50:51]
	v_mul_f64 v[130:131], v[164:165], s[0:1]
	v_add_f64 v[48:49], v[48:49], v[64:65]
	v_mul_f64 v[64:65], v[140:141], s[0:1]
	s_waitcnt vmcnt(2)
	v_add_f64 v[66:67], v[66:67], -v[68:69]
	v_mul_f64 v[68:69], v[140:141], s[2:3]
	v_add_f64 v[52:53], v[18:19], v[52:53]
	v_add_f64 v[50:51], v[18:19], v[50:51]
	;; [unrolled: 1-line block ×3, first 2 shown]
	v_mul_f64 v[140:141], v[168:169], s[24:25]
	v_add_f64 v[64:65], v[240:241], v[64:65]
	v_mul_f64 v[154:155], v[150:151], s[20:21]
	v_add_f64 v[66:67], v[16:17], v[66:67]
	s_waitcnt vmcnt(0)
	v_add_f64 v[68:69], v[72:73], v[68:69]
	s_clause 0x1
	buffer_load_dword v72, off, s[60:63], 0 offset:740
	buffer_load_dword v73, off, s[60:63], 0 offset:744
	v_add_f64 v[52:53], v[100:101], v[52:53]
	v_add_f64 v[50:51], v[98:99], v[50:51]
	v_mul_f64 v[100:101], v[132:133], s[36:37]
	v_add_f64 v[54:55], v[130:131], v[54:55]
	v_add_f64 v[140:141], v[140:141], -v[152:153]
	v_add_f64 v[64:65], v[18:19], v[64:65]
	v_mul_f64 v[152:153], v[164:165], s[22:23]
	v_add_f64 v[154:155], v[248:249], v[154:155]
	v_add_f64 v[18:19], v[18:19], v[68:69]
	v_mul_f64 v[68:69], v[222:223], s[12:13]
	v_add_f64 v[52:53], v[96:97], v[52:53]
	v_add_f64 v[50:51], v[94:95], v[50:51]
	v_fma_f64 v[132:133], v[148:149], s[2:3], v[100:101]
	v_fma_f64 v[98:99], v[148:149], s[2:3], -v[100:101]
	v_mul_f64 v[96:97], v[166:167], s[34:35]
	v_add_f64 v[30:31], v[128:129], v[54:55]
	v_add_f64 v[14:15], v[140:141], v[14:15]
	;; [unrolled: 1-line block ×6, first 2 shown]
	v_mul_f64 v[92:93], v[172:173], s[52:53]
	v_fma_f64 v[94:95], v[162:163], s[18:19], -v[96:97]
	v_add_f64 v[30:31], v[70:71], v[30:31]
	v_add_f64 v[56:57], v[152:153], v[56:57]
	;; [unrolled: 1-line block ×4, first 2 shown]
	v_mul_f64 v[52:53], v[182:183], s[28:29]
	v_fma_f64 v[90:91], v[168:169], s[0:1], -v[92:93]
	v_mul_f64 v[86:87], v[170:171], s[20:21]
	v_add_f64 v[2:3], v[146:147], v[56:57]
	v_mul_f64 v[56:57], v[148:149], s[0:1]
	v_add_f64 v[24:25], v[84:85], v[42:43]
	v_add_f64 v[42:43], v[82:83], v[50:51]
	v_fma_f64 v[54:55], v[184:185], s[14:15], v[52:53]
	v_mul_f64 v[84:85], v[168:169], s[22:23]
	v_fma_f64 v[52:53], v[184:185], s[14:15], -v[52:53]
	v_add_f64 v[2:3], v[138:139], v[2:3]
	s_waitcnt vmcnt(0)
	v_mul_f64 v[72:73], v[72:73], s[50:51]
	v_fma_f64 v[74:75], v[136:137], s[20:21], v[72:73]
	v_fma_f64 v[72:73], v[136:137], s[20:21], -v[72:73]
	v_mul_f64 v[136:137], v[184:185], s[20:21]
	v_add_f64 v[74:75], v[16:17], v[74:75]
	v_add_f64 v[72:73], v[16:17], v[72:73]
	;; [unrolled: 1-line block ×3, first 2 shown]
	s_clause 0x3
	buffer_load_dword v76, off, s[60:63], 0 offset:164
	buffer_load_dword v77, off, s[60:63], 0 offset:168
	;; [unrolled: 1-line block ×4, first 2 shown]
	v_add_f64 v[136:137], v[136:137], -v[160:161]
	v_add_f64 v[74:75], v[132:133], v[74:75]
	v_add_f64 v[72:73], v[98:99], v[72:73]
	v_fma_f64 v[98:99], v[162:163], s[18:19], v[96:97]
	v_add_f64 v[14:15], v[136:137], v[14:15]
	v_add_f64 v[72:73], v[94:95], v[72:73]
	;; [unrolled: 1-line block ×3, first 2 shown]
	v_fma_f64 v[94:95], v[168:169], s[0:1], v[92:93]
	v_mul_f64 v[92:93], v[184:185], s[0:1]
	v_add_f64 v[72:73], v[90:91], v[72:73]
	v_mul_f64 v[90:91], v[186:187], s[18:19]
	v_add_f64 v[74:75], v[94:95], v[74:75]
	v_add_f64 v[52:53], v[52:53], v[72:73]
	v_mul_f64 v[72:73], v[164:165], s[24:25]
	v_add_f64 v[54:55], v[54:55], v[74:75]
	v_mul_f64 v[74:75], v[162:163], s[24:25]
	;; [unrolled: 2-line block ×3, first 2 shown]
	v_add_f64 v[40:41], v[40:41], v[54:55]
	s_waitcnt vmcnt(0)
	v_add_f64 v[46:47], v[46:47], v[78:79]
	v_mul_f64 v[78:79], v[210:211], s[22:23]
	v_add_f64 v[48:49], v[48:49], v[76:77]
	v_fma_f64 v[76:77], v[252:253], s[44:45], v[68:69]
	v_fma_f64 v[68:69], v[252:253], s[54:55], v[68:69]
	v_fma_f64 v[80:81], v[218:219], s[48:49], v[78:79]
	v_fma_f64 v[78:79], v[218:219], s[26:27], v[78:79]
	v_add_f64 v[6:7], v[80:81], v[24:25]
	v_add_f64 v[24:25], v[78:79], v[42:43]
	s_clause 0x5
	buffer_load_dword v42, off, s[60:63], 0 offset:1416
	buffer_load_dword v43, off, s[60:63], 0 offset:1420
	buffer_load_dword v44, off, s[60:63], 0 offset:1424
	buffer_load_dword v45, off, s[60:63], 0 offset:1428
	buffer_load_dword v50, off, s[60:63], 0 offset:1440
	buffer_load_dword v51, off, s[60:63], 0 offset:1444
	s_waitcnt vmcnt(4)
	v_add_f64 v[34:35], v[42:43], v[34:35]
	v_mul_f64 v[42:43], v[164:165], s[20:21]
	v_add_f64 v[34:35], v[34:35], v[60:61]
	s_waitcnt vmcnt(2)
	v_add_f64 v[42:43], v[44:45], v[42:43]
	v_mul_f64 v[44:45], v[170:171], s[22:23]
	v_add_f64 v[34:35], v[42:43], v[34:35]
	s_waitcnt vmcnt(0)
	v_add_f64 v[44:45], v[50:51], v[44:45]
	s_clause 0x2d
	buffer_load_dword v50, off, s[60:63], 0 offset:1432
	buffer_load_dword v51, off, s[60:63], 0 offset:1436
	;; [unrolled: 1-line block ×46, first 2 shown]
	v_mul_f64 v[42:43], v[186:187], s[0:1]
	v_add_f64 v[34:35], v[44:45], v[34:35]
	v_mul_f64 v[44:45], v[148:149], s[12:13]
	s_waitcnt vmcnt(44)
	v_add_f64 v[42:43], v[50:51], v[42:43]
	s_waitcnt vmcnt(42)
	v_add_f64 v[36:37], v[36:37], -v[54:55]
	v_mul_f64 v[54:55], v[162:163], s[20:21]
	v_mul_f64 v[50:51], v[150:151], s[12:13]
	s_waitcnt vmcnt(36)
	v_add_f64 v[52:53], v[78:79], v[52:53]
	v_add_f64 v[44:45], v[44:45], -v[60:61]
	v_mul_f64 v[60:61], v[162:163], s[14:15]
	s_waitcnt vmcnt(32)
	v_add_f64 v[56:57], v[56:57], -v[82:83]
	v_mul_f64 v[78:79], v[168:169], s[12:13]
	s_waitcnt vmcnt(26)
	v_add_f64 v[72:73], v[96:97], v[72:73]
	s_waitcnt vmcnt(24)
	v_add_f64 v[74:75], v[74:75], -v[98:99]
	s_waitcnt vmcnt(22)
	v_add_f64 v[84:85], v[84:85], -v[100:101]
	v_mul_f64 v[100:101], v[194:195], s[18:19]
	s_waitcnt vmcnt(20)
	v_add_f64 v[86:87], v[110:111], v[86:87]
	v_mul_f64 v[98:99], v[194:195], s[2:3]
	v_mul_f64 v[96:97], v[194:195], s[22:23]
	;; [unrolled: 1-line block ×3, first 2 shown]
	s_waitcnt vmcnt(10)
	v_add_f64 v[90:91], v[128:129], v[90:91]
	v_add_f64 v[92:93], v[92:93], -v[122:123]
	v_mul_f64 v[128:129], v[222:223], s[20:21]
	v_fma_f64 v[122:123], v[208:209], s[22:23], v[102:103]
	s_waitcnt vmcnt(2)
	v_add_f64 v[108:109], v[140:141], v[108:109]
	s_waitcnt vmcnt(0)
	v_add_f64 v[70:71], v[104:105], -v[70:71]
	s_clause 0x1
	buffer_load_dword v104, off, s[60:63], 0 offset:1272
	buffer_load_dword v105, off, s[60:63], 0 offset:1276
	v_add_f64 v[54:55], v[54:55], -v[80:81]
	v_add_f64 v[36:37], v[36:37], v[62:63]
	v_add_f64 v[34:35], v[42:43], v[34:35]
	;; [unrolled: 1-line block ×3, first 2 shown]
	v_mul_f64 v[58:59], v[164:165], s[14:15]
	v_mul_f64 v[80:81], v[170:171], s[12:13]
	v_add_f64 v[18:19], v[52:53], v[18:19]
	v_add_f64 v[60:61], v[60:61], -v[94:95]
	v_add_f64 v[44:45], v[44:45], v[66:67]
	v_add_f64 v[16:17], v[56:57], v[16:17]
	v_mul_f64 v[62:63], v[184:185], s[22:23]
	v_add_f64 v[78:79], v[78:79], -v[118:119]
	v_mul_f64 v[94:95], v[194:195], s[14:15]
	v_mul_f64 v[66:67], v[196:197], s[14:15]
	v_add_f64 v[82:83], v[82:83], -v[112:113]
	v_mul_f64 v[56:57], v[196:197], s[2:3]
	v_mul_f64 v[52:53], v[196:197], s[22:23]
	;; [unrolled: 1-line block ×3, first 2 shown]
	v_fma_f64 v[102:103], v[208:209], s[22:23], -v[102:103]
	v_add_f64 v[30:31], v[108:109], v[30:31]
	v_add_f64 v[14:15], v[70:71], v[14:15]
	v_mul_f64 v[110:111], v[208:209], s[18:19]
	v_mul_f64 v[118:119], v[208:209], s[14:15]
	v_add_f64 v[36:37], v[54:55], v[36:37]
	v_mul_f64 v[54:55], v[196:197], s[18:19]
	v_add_f64 v[50:51], v[50:51], v[64:65]
	v_add_f64 v[58:59], v[88:89], v[58:59]
	v_mul_f64 v[88:89], v[186:187], s[22:23]
	v_add_f64 v[80:81], v[116:117], v[80:81]
	;; [unrolled: 3-line block ×3, first 2 shown]
	v_add_f64 v[16:17], v[74:75], v[16:17]
	v_add_f64 v[62:63], v[62:63], -v[134:135]
	v_mul_f64 v[74:75], v[210:211], s[14:15]
	v_mul_f64 v[72:73], v[210:211], s[12:13]
	;; [unrolled: 1-line block ×5, first 2 shown]
	v_add_f64 v[40:41], v[122:123], v[40:41]
	v_add_f64 v[36:37], v[84:85], v[36:37]
	v_mul_f64 v[84:85], v[220:221], s[20:21]
	v_add_f64 v[50:51], v[58:59], v[50:51]
	v_add_f64 v[88:89], v[132:133], v[88:89]
	v_mul_f64 v[58:59], v[210:211], s[18:19]
	v_add_f64 v[18:19], v[80:81], v[18:19]
	v_add_f64 v[64:65], v[64:65], -v[130:131]
	v_add_f64 v[44:45], v[82:83], v[44:45]
	v_add_f64 v[16:17], v[78:79], v[16:17]
	v_mul_f64 v[80:81], v[220:221], s[0:1]
	v_mul_f64 v[132:133], v[222:223], s[18:19]
	;; [unrolled: 1-line block ×4, first 2 shown]
	v_fma_f64 v[78:79], v[220:221], s[12:13], v[120:121]
	v_fma_f64 v[120:121], v[220:221], s[12:13], -v[120:121]
	v_add_f64 v[36:37], v[92:93], v[36:37]
	v_add_f64 v[50:51], v[86:87], v[50:51]
	v_mul_f64 v[86:87], v[220:221], s[2:3]
	v_add_f64 v[18:19], v[88:89], v[18:19]
	v_add_f64 v[44:45], v[64:65], v[44:45]
	;; [unrolled: 1-line block ×4, first 2 shown]
	s_waitcnt vmcnt(0)
	v_add_f64 v[54:55], v[104:105], v[54:55]
	s_clause 0x1
	buffer_load_dword v104, off, s[60:63], 0 offset:1256
	buffer_load_dword v105, off, s[60:63], 0 offset:1260
	v_add_f64 v[2:3], v[54:55], v[2:3]
	s_waitcnt vmcnt(0)
	v_add_f64 v[100:101], v[100:101], -v[104:105]
	s_clause 0x3
	buffer_load_dword v104, off, s[60:63], 0 offset:1140
	buffer_load_dword v105, off, s[60:63], 0 offset:1144
	;; [unrolled: 1-line block ×4, first 2 shown]
	v_add_f64 v[28:29], v[100:101], v[28:29]
	s_waitcnt vmcnt(2)
	v_add_f64 v[56:57], v[104:105], v[56:57]
	s_waitcnt vmcnt(0)
	v_add_f64 v[42:43], v[98:99], -v[42:43]
	s_clause 0x3
	buffer_load_dword v98, off, s[60:63], 0 offset:1012
	buffer_load_dword v99, off, s[60:63], 0 offset:1016
	;; [unrolled: 1-line block ×4, first 2 shown]
	v_add_f64 v[34:35], v[56:57], v[34:35]
	v_add_f64 v[36:37], v[42:43], v[36:37]
	s_waitcnt vmcnt(2)
	v_add_f64 v[52:53], v[98:99], v[52:53]
	s_waitcnt vmcnt(0)
	v_add_f64 v[90:91], v[96:97], -v[90:91]
	s_clause 0x3
	buffer_load_dword v96, off, s[60:63], 0 offset:852
	buffer_load_dword v97, off, s[60:63], 0 offset:856
	;; [unrolled: 1-line block ×4, first 2 shown]
	v_add_f64 v[50:51], v[52:53], v[50:51]
	v_add_f64 v[44:45], v[90:91], v[44:45]
	s_waitcnt vmcnt(2)
	v_add_f64 v[66:67], v[96:97], v[66:67]
	s_waitcnt vmcnt(0)
	v_add_f64 v[88:89], v[94:95], -v[88:89]
	s_clause 0xb
	buffer_load_dword v94, off, s[60:63], 0 offset:36
	buffer_load_dword v95, off, s[60:63], 0 offset:40
	;; [unrolled: 1-line block ×12, first 2 shown]
	v_add_f64 v[18:19], v[66:67], v[18:19]
	v_add_f64 v[16:17], v[88:89], v[16:17]
	s_waitcnt vmcnt(10)
	v_add_f64 v[48:49], v[48:49], v[94:95]
	s_waitcnt vmcnt(6)
	;; [unrolled: 2-line block ×3, first 2 shown]
	v_add_f64 v[62:63], v[124:125], -v[62:63]
	s_waitcnt vmcnt(2)
	v_add_f64 v[64:65], v[64:65], v[74:75]
	s_clause 0x3
	buffer_load_dword v74, off, s[60:63], 0 offset:1076
	buffer_load_dword v75, off, s[60:63], 0 offset:1080
	;; [unrolled: 1-line block ×4, first 2 shown]
	v_add_f64 v[46:47], v[46:47], v[96:97]
	s_waitcnt vmcnt(4)
	v_add_f64 v[54:55], v[118:119], -v[54:55]
	v_add_f64 v[30:31], v[32:33], v[30:31]
	v_add_f64 v[64:65], v[64:65], v[2:3]
	;; [unrolled: 1-line block ×3, first 2 shown]
	s_waitcnt vmcnt(2)
	v_add_f64 v[72:73], v[74:75], v[72:73]
	s_clause 0x3
	buffer_load_dword v74, off, s[60:63], 0 offset:980
	buffer_load_dword v75, off, s[60:63], 0 offset:984
	;; [unrolled: 1-line block ×4, first 2 shown]
	s_waitcnt vmcnt(4)
	v_add_f64 v[56:57], v[116:117], -v[56:57]
	v_add_f64 v[34:35], v[72:73], v[34:35]
	s_waitcnt vmcnt(2)
	v_add_f64 v[60:61], v[74:75], v[60:61]
	s_clause 0xb
	buffer_load_dword v74, off, s[60:63], 0 offset:884
	buffer_load_dword v75, off, s[60:63], 0 offset:888
	;; [unrolled: 1-line block ×12, first 2 shown]
	s_waitcnt vmcnt(12)
	v_add_f64 v[52:53], v[112:113], -v[52:53]
	v_add_f64 v[50:51], v[60:61], v[50:51]
	v_add_f64 v[44:45], v[52:53], v[44:45]
	;; [unrolled: 1-line block ×11, first 2 shown]
	s_waitcnt vmcnt(10)
	v_add_f64 v[58:59], v[74:75], v[58:59]
	s_waitcnt vmcnt(8)
	v_add_f64 v[66:67], v[110:111], -v[66:67]
	s_waitcnt vmcnt(4)
	v_add_f64 v[46:47], v[46:47], v[94:95]
	v_add_f64 v[48:49], v[48:49], v[92:93]
	s_waitcnt vmcnt(0)
	v_add_f64 v[70:71], v[142:143], -v[32:33]
	s_clause 0x3
	buffer_load_dword v32, off, s[60:63], 0 offset:1172
	buffer_load_dword v33, off, s[60:63], 0 offset:1176
	;; [unrolled: 1-line block ×4, first 2 shown]
	v_add_f64 v[42:43], v[42:43], v[144:145]
	v_add_f64 v[58:59], v[58:59], v[18:19]
	;; [unrolled: 1-line block ×4, first 2 shown]
	s_waitcnt vmcnt(2)
	v_add_f64 v[32:33], v[32:33], v[134:135]
	s_waitcnt vmcnt(0)
	v_add_f64 v[74:75], v[80:81], -v[2:3]
	s_clause 0x1
	buffer_load_dword v2, off, s[60:63], 0 offset:1044
	buffer_load_dword v3, off, s[60:63], 0 offset:1048
	v_add_f64 v[22:23], v[32:33], v[64:65]
	v_add_f64 v[20:21], v[74:75], v[54:55]
	s_waitcnt vmcnt(0)
	v_add_f64 v[80:81], v[2:3], v[132:133]
	s_clause 0x1
	buffer_load_dword v2, off, s[60:63], 0 offset:1028
	buffer_load_dword v3, off, s[60:63], 0 offset:1032
	v_add_f64 v[26:27], v[80:81], v[34:35]
	s_waitcnt vmcnt(0)
	v_add_f64 v[72:73], v[82:83], -v[2:3]
	s_clause 0x1
	buffer_load_dword v2, off, s[60:63], 0 offset:948
	buffer_load_dword v3, off, s[60:63], 0 offset:952
	s_waitcnt vmcnt(0)
	v_add_f64 v[82:83], v[2:3], v[130:131]
	s_clause 0x1
	buffer_load_dword v2, off, s[60:63], 0 offset:932
	buffer_load_dword v3, off, s[60:63], 0 offset:936
	v_add_f64 v[30:31], v[82:83], v[50:51]
	s_waitcnt vmcnt(0)
	v_add_f64 v[60:61], v[86:87], -v[2:3]
	s_clause 0x1
	buffer_load_dword v2, off, s[60:63], 0 offset:916
	buffer_load_dword v3, off, s[60:63], 0 offset:920
	v_add_f64 v[28:29], v[60:61], v[44:45]
	s_waitcnt vmcnt(0)
	v_add_f64 v[86:87], v[2:3], v[128:129]
	s_clause 0x9
	buffer_load_dword v2, off, s[60:63], 0 offset:900
	buffer_load_dword v3, off, s[60:63], 0 offset:904
	;; [unrolled: 1-line block ×10, first 2 shown]
	v_add_f64 v[34:35], v[86:87], v[58:59]
	s_waitcnt vmcnt(8)
	v_add_f64 v[84:85], v[84:85], -v[2:3]
	s_waitcnt vmcnt(4)
	v_add_f64 v[46:47], v[46:47], v[90:91]
	v_add_f64 v[48:49], v[48:49], v[88:89]
	;; [unrolled: 1-line block ×6, first 2 shown]
	s_waitcnt vmcnt(0)
	v_add_f64 v[38:39], v[46:47], v[38:39]
	buffer_load_dword v47, off, s[60:63], 0 offset:708 ; 4-byte Folded Reload
	v_add_f64 v[36:37], v[48:49], v[36:37]
	v_add_f64 v[16:17], v[70:71], v[56:57]
	s_waitcnt vmcnt(0)
	v_mul_u32_u24_e32 v40, 17, v47
	v_lshlrev_b32_e32 v40, 4, v40
	ds_write_b128 v40, v[36:39]
	ds_write_b128 v40, v[32:35] offset:16
	ds_write_b128 v40, v[28:31] offset:32
	;; [unrolled: 1-line block ×9, first 2 shown]
	s_clause 0x3
	buffer_load_dword v0, off, s[60:63], 0 offset:324
	buffer_load_dword v1, off, s[60:63], 0 offset:328
	buffer_load_dword v2, off, s[60:63], 0 offset:332
	buffer_load_dword v3, off, s[60:63], 0 offset:336
	s_waitcnt vmcnt(0)
	ds_write_b128 v40, v[0:3] offset:160
	s_clause 0x3
	buffer_load_dword v0, off, s[60:63], 0 offset:308
	buffer_load_dword v1, off, s[60:63], 0 offset:312
	buffer_load_dword v2, off, s[60:63], 0 offset:316
	buffer_load_dword v3, off, s[60:63], 0 offset:320
	s_waitcnt vmcnt(0)
	ds_write_b128 v40, v[0:3] offset:176
	;; [unrolled: 7-line block ×7, first 2 shown]
.LBB0_7:
	s_or_b32 exec_lo, exec_lo, s33
	buffer_load_dword v210, off, s[60:63], 0 ; 4-byte Folded Reload
	v_and_b32_e32 v1, 0xff, v47
	s_waitcnt vmcnt(0) lgkmcnt(0)
	s_waitcnt_vscnt null, 0x0
	s_barrier
	buffer_gl0_inv
	v_mov_b32_e32 v243, 4
	v_mul_lo_u16 v1, 0xf1, v1
	v_mov_b32_e32 v244, v47
	v_mov_b32_e32 v128, 51
	s_mov_b32 s12, 0xe8584caa
	s_mov_b32 s13, 0x3febb67a
	v_lshrrev_b16 v110, 12, v1
	s_mov_b32 s15, 0xbfebb67a
	s_mov_b32 s14, s12
	;; [unrolled: 1-line block ×4, first 2 shown]
	v_mul_lo_u16 v1, v110, 17
	v_mul_u32_u24_sdwa v110, v110, v128 dst_sel:DWORD dst_unused:UNUSED_PAD src0_sel:WORD_0 src1_sel:DWORD
	s_mov_b32 s30, 0xa2cf5039
	s_mov_b32 s1, s13
	;; [unrolled: 1-line block ×16, first 2 shown]
	v_and_b32_e32 v0, 0xff, v210
	v_add_co_u32 v137, null, 0x66, v210
	v_add_co_u32 v135, null, 0xff, v210
	v_mul_lo_u16 v0, 0xf1, v0
	v_and_b32_e32 v108, 0xff, v137
	v_add_co_u32 v132, null, 0x132, v210
	v_add_co_u32 v133, null, 0x165, v210
	v_lshrrev_b16 v109, 12, v0
	v_mul_lo_u16 v2, 0xf1, v108
	v_add_co_u32 v134, null, 0x198, v210
	v_add_co_u32 v138, null, 0x99, v210
	v_mul_lo_u16 v0, v109, 17
	v_lshrrev_b16 v113, 12, v2
	v_add_co_u32 v136, null, 0xcc, v210
	v_lshlrev_b32_e32 v127, 7, v210
	v_sub_nc_u16 v111, v210, v0
	v_sub_nc_u16 v0, v47, v1
	v_and_b32_e32 v6, 0xff, v136
	v_lshlrev_b16 v1, 1, v111
	v_and_b32_e32 v112, 0xff, v0
	v_mov_b32_e32 v0, 0xf0f1
	v_mad_u16 v109, v109, 51, v111
	v_and_b32_e32 v1, 0xfe, v1
	v_lshlrev_b32_e32 v3, 5, v112
	v_mul_u32_u24_sdwa v4, v135, v0 dst_sel:DWORD dst_unused:UNUSED_PAD src0_sel:WORD_0 src1_sel:DWORD
	v_mul_u32_u24_sdwa v2, v132, v0 dst_sel:DWORD dst_unused:UNUSED_PAD src0_sel:WORD_0 src1_sel:DWORD
	v_lshlrev_b32_sdwa v236, v243, v109 dst_sel:DWORD dst_unused:UNUSED_PAD src0_sel:DWORD src1_sel:BYTE_0
	v_lshlrev_b32_e32 v1, 4, v1
	s_clause 0x1
	global_load_dwordx4 v[159:162], v3, s[4:5] offset:16
	global_load_dwordx4 v[163:166], v3, s[4:5]
	v_mul_u32_u24_sdwa v3, v133, v0 dst_sel:DWORD dst_unused:UNUSED_PAD src0_sel:WORD_0 src1_sel:DWORD
	v_lshrrev_b32_e32 v114, 20, v4
	v_lshrrev_b32_e32 v115, 20, v2
	v_mul_u32_u24_sdwa v0, v134, v0 dst_sel:DWORD dst_unused:UNUSED_PAD src0_sel:WORD_0 src1_sel:DWORD
	v_mul_lo_u16 v4, v113, 17
	v_lshrrev_b32_e32 v116, 20, v3
	v_mul_lo_u16 v2, v114, 17
	v_mul_lo_u16 v3, v115, 17
	v_lshrrev_b32_e32 v118, 20, v0
	v_sub_nc_u16 v4, v137, v4
	v_mul_lo_u16 v0, v116, 17
	v_sub_nc_u16 v117, v135, v2
	v_sub_nc_u16 v119, v132, v3
	v_mul_lo_u16 v5, v118, 17
	v_and_b32_e32 v2, 0xff, v138
	v_sub_nc_u16 v120, v133, v0
	v_lshlrev_b16 v3, 1, v117
	v_lshlrev_b16 v0, 1, v119
	v_sub_nc_u16 v121, v134, v5
	v_mul_lo_u16 v2, 0xf1, v2
	v_lshlrev_b16 v5, 1, v120
	v_lshlrev_b32_sdwa v3, v243, v3 dst_sel:DWORD dst_unused:UNUSED_PAD src0_sel:DWORD src1_sel:WORD_0
	v_lshlrev_b32_sdwa v0, v243, v0 dst_sel:DWORD dst_unused:UNUSED_PAD src0_sel:DWORD src1_sel:WORD_0
	s_clause 0x1
	global_load_dwordx4 v[195:198], v3, s[4:5]
	global_load_dwordx4 v[183:186], v3, s[4:5] offset:16
	v_lshlrev_b32_sdwa v5, v243, v5 dst_sel:DWORD dst_unused:UNUSED_PAD src0_sel:DWORD src1_sel:WORD_0
	s_clause 0x1
	global_load_dwordx4 v[191:194], v0, s[4:5]
	global_load_dwordx4 v[179:182], v0, s[4:5] offset:16
	v_lshlrev_b16 v3, 1, v121
	s_clause 0x3
	global_load_dwordx4 v[231:234], v1, s[4:5]
	global_load_dwordx4 v[227:230], v1, s[4:5] offset:16
	global_load_dwordx4 v[175:178], v5, s[4:5]
	global_load_dwordx4 v[171:174], v5, s[4:5] offset:16
	v_lshlrev_b32_sdwa v0, v243, v3 dst_sel:DWORD dst_unused:UNUSED_PAD src0_sel:DWORD src1_sel:WORD_0
	v_lshrrev_b16 v122, 12, v2
	v_mul_lo_u16 v2, 0xf1, v6
	v_and_b32_e32 v123, 0xff, v4
	v_mul_u32_u24_sdwa v113, v113, v128 dst_sel:DWORD dst_unused:UNUSED_PAD src0_sel:WORD_0 src1_sel:DWORD
	s_clause 0x1
	global_load_dwordx4 v[167:170], v0, s[4:5]
	global_load_dwordx4 v[187:190], v0, s[4:5] offset:16
	v_mul_lo_u16 v3, v122, 17
	v_lshrrev_b16 v125, 12, v2
	v_lshlrev_b32_e32 v1, 5, v123
	v_mul_u32_u24_sdwa v122, v122, v128 dst_sel:DWORD dst_unused:UNUSED_PAD src0_sel:WORD_0 src1_sel:DWORD
	v_mad_u16 v111, v114, 51, v117
	v_sub_nc_u16 v0, v138, v3
	v_mul_lo_u16 v2, v125, 17
	s_clause 0x1
	global_load_dwordx4 v[223:226], v1, s[4:5]
	global_load_dwordx4 v[219:222], v1, s[4:5] offset:16
	v_mul_u32_u24_sdwa v125, v125, v128 dst_sel:DWORD dst_unused:UNUSED_PAD src0_sel:WORD_0 src1_sel:DWORD
	v_and_b32_e32 v124, 0xff, v0
	v_sub_nc_u16 v0, v136, v2
	v_mad_u16 v114, v115, 51, v119
	v_mad_u16 v115, v116, 51, v120
	;; [unrolled: 1-line block ×3, first 2 shown]
	v_lshlrev_b32_e32 v2, 5, v124
	v_and_b32_e32 v126, 0xff, v0
	v_add_lshl_u32 v242, v110, v112, 4
	v_lshlrev_b32_sdwa v209, v243, v114 dst_sel:DWORD dst_unused:UNUSED_PAD src0_sel:DWORD src1_sel:WORD_0
	v_add_lshl_u32 v241, v113, v123, 4
	global_load_dwordx4 v[215:218], v2, s[4:5]
	v_lshlrev_b32_e32 v0, 5, v126
	s_clause 0x2
	global_load_dwordx4 v[211:214], v2, s[4:5] offset:16
	global_load_dwordx4 v[203:206], v0, s[4:5]
	global_load_dwordx4 v[199:202], v0, s[4:5] offset:16
	ds_read_b128 v[0:3], v238
	ds_read_b128 v[40:43], v238 offset:7344
	ds_read_b128 v[36:39], v238 offset:14688
	;; [unrolled: 1-line block ×26, first 2 shown]
	v_add_lshl_u32 v240, v122, v124, 4
	v_add_lshl_u32 v237, v125, v126, 4
	v_lshlrev_b32_sdwa v235, v243, v111 dst_sel:DWORD dst_unused:UNUSED_PAD src0_sel:DWORD src1_sel:WORD_0
	v_lshlrev_b32_sdwa v208, v243, v115 dst_sel:DWORD dst_unused:UNUSED_PAD src0_sel:DWORD src1_sel:WORD_0
	;; [unrolled: 1-line block ×3, first 2 shown]
	s_waitcnt vmcnt(0) lgkmcnt(0)
	v_mul_f64 v[113:114], v[78:79], v[161:162]
	v_mul_f64 v[109:110], v[82:83], v[165:166]
	v_mul_f64 v[111:112], v[80:81], v[165:166]
	v_mul_f64 v[115:116], v[76:77], v[161:162]
	v_fma_f64 v[76:77], v[76:77], v[159:160], -v[113:114]
	v_fma_f64 v[80:81], v[80:81], v[163:164], -v[109:110]
	buffer_store_dword v163, off, s[60:63], 0 offset:20 ; 4-byte Folded Spill
	buffer_store_dword v164, off, s[60:63], 0 offset:24 ; 4-byte Folded Spill
	;; [unrolled: 1-line block ×8, first 2 shown]
	v_mul_f64 v[117:118], v[106:107], v[197:198]
	v_mul_f64 v[121:122], v[98:99], v[185:186]
	;; [unrolled: 1-line block ×19, first 2 shown]
	v_fma_f64 v[104:105], v[104:105], v[195:196], -v[117:118]
	buffer_store_dword v195, off, s[60:63], 0 offset:148 ; 4-byte Folded Spill
	buffer_store_dword v196, off, s[60:63], 0 offset:152 ; 4-byte Folded Spill
	buffer_store_dword v197, off, s[60:63], 0 offset:156 ; 4-byte Folded Spill
	buffer_store_dword v198, off, s[60:63], 0 offset:160 ; 4-byte Folded Spill
	v_fma_f64 v[96:97], v[96:97], v[183:184], -v[121:122]
	buffer_store_dword v183, off, s[60:63], 0 offset:100 ; 4-byte Folded Spill
	buffer_store_dword v184, off, s[60:63], 0 offset:104 ; 4-byte Folded Spill
	buffer_store_dword v185, off, s[60:63], 0 offset:108 ; 4-byte Folded Spill
	buffer_store_dword v186, off, s[60:63], 0 offset:112 ; 4-byte Folded Spill
	;; [unrolled: 5-line block ×6, first 2 shown]
	s_barrier
	s_waitcnt_vscnt null, 0x0
	buffer_gl0_inv
	v_fma_f64 v[40:41], v[40:41], v[231:232], -v[157:158]
	v_fma_f64 v[72:73], v[72:73], v[167:168], -v[149:150]
	buffer_store_dword v167, off, s[60:63], 0 offset:36 ; 4-byte Folded Spill
	buffer_store_dword v168, off, s[60:63], 0 offset:40 ; 4-byte Folded Spill
	;; [unrolled: 1-line block ×4, first 2 shown]
	v_fma_f64 v[68:69], v[68:69], v[187:188], -v[153:154]
	buffer_store_dword v187, off, s[60:63], 0 offset:116 ; 4-byte Folded Spill
	buffer_store_dword v188, off, s[60:63], 0 offset:120 ; 4-byte Folded Spill
	;; [unrolled: 1-line block ×8, first 2 shown]
	v_mul_f64 v[117:118], v[48:49], v[225:226]
	v_mul_f64 v[121:122], v[44:45], v[221:222]
	;; [unrolled: 1-line block ×6, first 2 shown]
	v_add_f64 v[149:150], v[92:93], -v[84:85]
	v_add_f64 v[157:158], v[72:73], -v[68:69]
	v_fma_f64 v[82:83], v[82:83], v[163:164], v[111:112]
	v_mul_f64 v[111:112], v[38:39], v[229:230]
	v_fma_f64 v[78:79], v[78:79], v[159:160], v[115:116]
	v_mul_f64 v[115:116], v[50:51], v[225:226]
	v_fma_f64 v[48:49], v[48:49], v[223:224], -v[115:116]
	v_fma_f64 v[106:107], v[106:107], v[195:196], v[119:120]
	v_mul_f64 v[119:120], v[46:47], v[221:222]
	v_fma_f64 v[98:99], v[98:99], v[183:184], v[123:124]
	v_mul_f64 v[123:124], v[54:55], v[217:218]
	;; [unrolled: 2-line block ×5, first 2 shown]
	v_fma_f64 v[86:87], v[86:87], v[171:172], v[147:148]
	v_add_f64 v[115:116], v[82:83], -v[78:79]
	v_fma_f64 v[74:75], v[74:75], v[167:168], v[151:152]
	v_add_f64 v[151:152], v[72:73], v[68:69]
	v_fma_f64 v[70:71], v[70:71], v[187:188], v[155:156]
	v_fma_f64 v[42:43], v[42:43], v[231:232], v[109:110]
	v_fma_f64 v[109:110], v[36:37], v[227:228], -v[111:112]
	buffer_store_dword v227, off, s[60:63], 0 offset:740 ; 4-byte Folded Spill
	buffer_store_dword v228, off, s[60:63], 0 offset:744 ; 4-byte Folded Spill
	;; [unrolled: 1-line block ×8, first 2 shown]
	v_add_f64 v[36:37], v[28:29], v[80:81]
	v_fma_f64 v[44:45], v[44:45], v[219:220], -v[119:120]
	buffer_store_dword v219, off, s[60:63], 0 offset:708 ; 4-byte Folded Spill
	buffer_store_dword v220, off, s[60:63], 0 offset:712 ; 4-byte Folded Spill
	buffer_store_dword v221, off, s[60:63], 0 offset:716 ; 4-byte Folded Spill
	buffer_store_dword v222, off, s[60:63], 0 offset:720 ; 4-byte Folded Spill
	v_fma_f64 v[52:53], v[52:53], v[215:216], -v[123:124]
	buffer_store_dword v215, off, s[60:63], 0 offset:212 ; 4-byte Folded Spill
	buffer_store_dword v216, off, s[60:63], 0 offset:216 ; 4-byte Folded Spill
	buffer_store_dword v217, off, s[60:63], 0 offset:220 ; 4-byte Folded Spill
	buffer_store_dword v218, off, s[60:63], 0 offset:224 ; 4-byte Folded Spill
	;; [unrolled: 5-line block ×5, first 2 shown]
	v_add_f64 v[119:120], v[104:105], v[96:97]
	v_add_f64 v[123:124], v[34:35], v[106:107]
	;; [unrolled: 1-line block ×6, first 2 shown]
	v_add_f64 v[153:154], v[74:75], -v[70:71]
	v_add_f64 v[155:156], v[18:19], v[74:75]
	v_add_f64 v[74:75], v[74:75], v[70:71]
	;; [unrolled: 1-line block ×3, first 2 shown]
	v_add_f64 v[161:162], v[40:41], -v[109:110]
	v_add_f64 v[36:37], v[36:37], v[76:77]
	v_fma_f64 v[151:152], v[151:152], -0.5, v[16:17]
	v_add_f64 v[163:164], v[64:65], -v[60:61]
	v_fma_f64 v[111:112], v[38:39], v[227:228], v[113:114]
	v_fma_f64 v[50:51], v[50:51], v[223:224], v[117:118]
	v_add_f64 v[113:114], v[80:81], v[76:77]
	v_add_f64 v[38:39], v[30:31], v[82:83]
	v_fma_f64 v[46:47], v[46:47], v[219:220], v[121:122]
	v_add_f64 v[82:83], v[82:83], v[78:79]
	v_fma_f64 v[54:55], v[54:55], v[215:216], v[125:126]
	v_add_f64 v[117:118], v[32:33], v[104:105]
	v_fma_f64 v[58:59], v[58:59], v[211:212], v[130:131]
	v_add_f64 v[121:122], v[106:107], -v[98:99]
	v_fma_f64 v[66:67], v[66:67], v[203:204], v[141:142]
	v_add_f64 v[106:107], v[106:107], v[98:99]
	v_fma_f64 v[62:63], v[62:63], v[199:200], v[145:146]
	v_add_f64 v[125:126], v[24:25], v[100:101]
	v_add_f64 v[130:131], v[102:103], -v[90:91]
	v_add_f64 v[102:103], v[102:103], v[90:91]
	v_add_f64 v[141:142], v[20:21], v[92:93]
	v_add_f64 v[145:146], v[94:95], -v[86:87]
	v_add_f64 v[94:95], v[94:95], v[86:87]
	v_add_f64 v[80:81], v[80:81], -v[76:77]
	v_add_f64 v[104:105], v[104:105], -v[96:97]
	;; [unrolled: 1-line block ×3, first 2 shown]
	v_add_f64 v[92:93], v[16:17], v[72:73]
	v_add_f64 v[72:73], v[0:1], v[40:41]
	;; [unrolled: 1-line block ×3, first 2 shown]
	v_fma_f64 v[113:114], v[113:114], -0.5, v[28:29]
	v_add_f64 v[38:39], v[38:39], v[78:79]
	v_fma_f64 v[82:83], v[82:83], -0.5, v[30:31]
	v_add_f64 v[30:31], v[123:124], v[98:99]
	v_add_f64 v[28:29], v[117:118], v[96:97]
	v_add_f64 v[96:97], v[48:49], v[44:45]
	v_add_f64 v[98:99], v[50:51], -v[46:47]
	v_fma_f64 v[117:118], v[119:120], -0.5, v[32:33]
	v_fma_f64 v[106:107], v[106:107], -0.5, v[34:35]
	v_add_f64 v[119:120], v[6:7], v[50:51]
	v_add_f64 v[50:51], v[50:51], v[46:47]
	;; [unrolled: 1-line block ×5, first 2 shown]
	v_add_f64 v[90:91], v[54:55], -v[58:59]
	v_fma_f64 v[125:126], v[128:129], -0.5, v[24:25]
	v_fma_f64 v[102:103], v[102:103], -0.5, v[26:27]
	v_add_f64 v[128:129], v[10:11], v[54:55]
	v_add_f64 v[54:55], v[54:55], v[58:59]
	;; [unrolled: 1-line block ×6, first 2 shown]
	v_fma_f64 v[141:142], v[143:144], -0.5, v[20:21]
	v_fma_f64 v[143:144], v[94:95], -0.5, v[22:23]
	v_add_f64 v[94:95], v[66:67], v[62:63]
	v_add_f64 v[78:79], v[42:43], -v[111:112]
	v_add_f64 v[42:43], v[42:43], v[111:112]
	v_add_f64 v[40:41], v[4:5], v[48:49]
	v_add_f64 v[123:124], v[48:49], -v[44:45]
	v_add_f64 v[48:49], v[8:9], v[52:53]
	v_add_f64 v[139:140], v[52:53], -v[56:57]
	v_add_f64 v[147:148], v[66:67], -v[62:63]
	v_add_f64 v[20:21], v[92:93], v[68:69]
	v_add_f64 v[22:23], v[155:156], v[70:71]
	v_fma_f64 v[155:156], v[74:75], -0.5, v[18:19]
	v_add_f64 v[16:17], v[72:73], v[109:110]
	v_fma_f64 v[66:67], v[76:77], -0.5, v[0:1]
	v_fma_f64 v[74:75], v[96:97], -0.5, v[4:5]
	v_fma_f64 v[92:93], v[50:51], -0.5, v[6:7]
	v_fma_f64 v[88:89], v[88:89], -0.5, v[8:9]
	v_fma_f64 v[96:97], v[54:55], -0.5, v[10:11]
	v_add_f64 v[52:53], v[12:13], v[64:65]
	v_fma_f64 v[109:110], v[84:85], -0.5, v[12:13]
	v_add_f64 v[10:11], v[86:87], v[62:63]
	v_add_f64 v[18:19], v[159:160], v[111:112]
	v_add_f64 v[6:7], v[128:129], v[58:59]
	v_fma_f64 v[62:63], v[94:95], -0.5, v[14:15]
	v_fma_f64 v[14:15], v[80:81], s[14:15], v[82:83]
	v_fma_f64 v[70:71], v[42:43], -0.5, v[2:3]
	v_add_f64 v[0:1], v[40:41], v[44:45]
	v_add_f64 v[2:3], v[119:120], v[46:47]
	;; [unrolled: 1-line block ×3, first 2 shown]
	v_fma_f64 v[40:41], v[115:116], s[14:15], v[113:114]
	v_fma_f64 v[42:43], v[80:81], s[12:13], v[82:83]
	;; [unrolled: 1-line block ×22, first 2 shown]
	v_add_f64 v[8:9], v[52:53], v[60:61]
	v_fma_f64 v[66:67], v[161:162], s[14:15], v[70:71]
	v_fma_f64 v[44:45], v[121:122], s[12:13], v[117:118]
	;; [unrolled: 1-line block ×13, first 2 shown]
	ds_write_b128 v236, v[16:19]
	ds_write_b128 v236, v[64:67] offset:272
	ds_write_b128 v236, v[68:71] offset:544
	ds_write_b128 v242, v[36:39]
	ds_write_b128 v242, v[12:15] offset:272
	buffer_store_dword v242, off, s[60:63], 0 offset:828 ; 4-byte Folded Spill
	ds_write_b128 v242, v[40:43] offset:544
	ds_write_b128 v241, v[0:3]
	ds_write_b128 v241, v[72:75] offset:272
	buffer_store_dword v241, off, s[60:63], 0 offset:820 ; 4-byte Folded Spill
	;; [unrolled: 4-line block ×8, first 2 shown]
	ds_write_b128 v207, v[104:107] offset:544
	s_waitcnt lgkmcnt(0)
	s_waitcnt_vscnt null, 0x0
	s_barrier
	buffer_gl0_inv
	s_clause 0x7
	global_load_dwordx4 v[192:195], v127, s[4:5] offset:544
	global_load_dwordx4 v[188:191], v127, s[4:5] offset:560
	;; [unrolled: 1-line block ×8, first 2 shown]
	v_mul_lo_u16 v0, 0xa1, v108
	v_mov_b32_e32 v1, 7
	v_lshrrev_b16 v0, 13, v0
	v_mul_lo_u16 v0, v0, 51
	v_sub_nc_u16 v139, v137, v0
	v_lshlrev_b32_sdwa v106, v1, v139 dst_sel:DWORD dst_unused:UNUSED_PAD src0_sel:DWORD src1_sel:BYTE_0
	s_clause 0x5
	global_load_dwordx4 v[144:147], v106, s[4:5] offset:544
	global_load_dwordx4 v[140:143], v106, s[4:5] offset:560
	;; [unrolled: 1-line block ×6, first 2 shown]
	ds_read_b128 v[0:3], v238 offset:2448
	ds_read_b128 v[4:7], v238 offset:4896
	;; [unrolled: 1-line block ×17, first 2 shown]
	v_lshlrev_b32_sdwa v237, v243, v139 dst_sel:DWORD dst_unused:UNUSED_PAD src0_sel:DWORD src1_sel:BYTE_0
	s_waitcnt vmcnt(13) lgkmcnt(16)
	v_mul_f64 v[16:17], v[2:3], v[194:195]
	v_mul_f64 v[18:19], v[0:1], v[194:195]
	s_waitcnt vmcnt(12) lgkmcnt(15)
	v_mul_f64 v[20:21], v[6:7], v[190:191]
	s_waitcnt vmcnt(11) lgkmcnt(14)
	v_mul_f64 v[76:77], v[10:11], v[182:183]
	v_mul_f64 v[78:79], v[8:9], v[182:183]
	s_waitcnt vmcnt(10) lgkmcnt(13)
	v_mul_f64 v[80:81], v[14:15], v[174:175]
	v_mul_f64 v[82:83], v[12:13], v[174:175]
	;; [unrolled: 1-line block ×3, first 2 shown]
	s_waitcnt vmcnt(9) lgkmcnt(12)
	v_mul_f64 v[84:85], v[24:25], v[198:199]
	s_waitcnt vmcnt(8) lgkmcnt(11)
	v_mul_f64 v[88:89], v[28:29], v[186:187]
	v_mul_f64 v[86:87], v[22:23], v[198:199]
	;; [unrolled: 1-line block ×3, first 2 shown]
	s_waitcnt vmcnt(7) lgkmcnt(10)
	v_mul_f64 v[92:93], v[32:33], v[178:179]
	v_mul_f64 v[98:99], v[30:31], v[178:179]
	s_waitcnt vmcnt(6) lgkmcnt(9)
	v_mul_f64 v[100:101], v[36:37], v[170:171]
	v_fma_f64 v[94:95], v[0:1], v[192:193], -v[16:17]
	v_fma_f64 v[96:97], v[2:3], v[192:193], v[18:19]
	v_fma_f64 v[102:103], v[4:5], v[188:189], -v[20:21]
	v_mul_f64 v[4:5], v[34:35], v[170:171]
	v_fma_f64 v[16:17], v[8:9], v[180:181], -v[76:77]
	v_fma_f64 v[18:19], v[10:11], v[180:181], v[78:79]
	s_waitcnt lgkmcnt(8)
	v_mul_f64 v[8:9], v[38:39], v[194:195]
	v_fma_f64 v[78:79], v[12:13], v[172:173], -v[80:81]
	v_fma_f64 v[20:21], v[14:15], v[172:173], v[82:83]
	s_waitcnt lgkmcnt(7)
	v_mul_f64 v[12:13], v[42:43], v[190:191]
	s_waitcnt lgkmcnt(6)
	v_mul_f64 v[14:15], v[48:49], v[182:183]
	v_fma_f64 v[104:105], v[6:7], v[188:189], v[74:75]
	v_mul_f64 v[6:7], v[40:41], v[194:195]
	v_fma_f64 v[80:81], v[22:23], v[196:197], -v[84:85]
	v_fma_f64 v[22:23], v[26:27], v[184:185], -v[88:89]
	s_waitcnt lgkmcnt(5)
	v_mul_f64 v[26:27], v[52:53], v[174:175]
	ds_read_b128 v[0:3], v238 offset:6528
	v_mul_f64 v[10:11], v[44:45], v[190:191]
	v_fma_f64 v[82:83], v[24:25], v[196:197], v[86:87]
	v_fma_f64 v[76:77], v[28:29], v[184:185], v[90:91]
	v_mul_f64 v[24:25], v[46:47], v[182:183]
	v_fma_f64 v[28:29], v[30:31], v[176:177], -v[92:93]
	s_waitcnt lgkmcnt(3)
	v_mul_f64 v[92:93], v[64:65], v[178:179]
	v_fma_f64 v[30:31], v[32:33], v[176:177], v[98:99]
	v_mul_f64 v[32:33], v[50:51], v[174:175]
	v_fma_f64 v[90:91], v[36:37], v[168:169], v[4:5]
	v_fma_f64 v[86:87], v[34:35], v[168:169], -v[100:101]
	v_mul_f64 v[88:89], v[60:61], v[186:187]
	v_fma_f64 v[116:117], v[40:41], v[192:193], v[8:9]
	v_mul_f64 v[40:41], v[58:59], v[186:187]
	v_mul_f64 v[84:85], v[54:55], v[198:199]
	v_fma_f64 v[118:119], v[44:45], v[188:189], v[12:13]
	v_mul_f64 v[12:13], v[62:63], v[178:179]
	v_fma_f64 v[36:37], v[46:47], v[180:181], -v[14:15]
	s_waitcnt lgkmcnt(2)
	v_mul_f64 v[14:15], v[68:69], v[170:171]
	s_waitcnt vmcnt(5) lgkmcnt(1)
	v_mul_f64 v[44:45], v[72:73], v[146:147]
	v_fma_f64 v[120:121], v[38:39], v[192:193], -v[6:7]
	ds_read_b128 v[4:7], v238 offset:8976
	v_fma_f64 v[34:35], v[50:51], v[172:173], -v[26:27]
	s_waitcnt vmcnt(4) lgkmcnt(1)
	v_mul_f64 v[50:51], v[2:3], v[142:143]
	v_fma_f64 v[122:123], v[42:43], v[188:189], -v[10:11]
	ds_read_b128 v[8:11], v238 offset:11424
	v_fma_f64 v[38:39], v[48:49], v[180:181], v[24:25]
	v_mul_f64 v[42:43], v[66:67], v[170:171]
	v_fma_f64 v[126:127], v[62:63], v[176:177], -v[92:93]
	v_mul_f64 v[74:75], v[56:57], v[198:199]
	v_fma_f64 v[32:33], v[52:53], v[172:173], v[32:33]
	v_mul_f64 v[52:53], v[0:1], v[142:143]
	v_add_f64 v[92:93], v[16:17], v[22:23]
	v_fma_f64 v[46:47], v[58:59], v[184:185], -v[88:89]
	v_add_f64 v[88:89], v[94:95], -v[86:87]
	v_fma_f64 v[48:49], v[60:61], v[184:185], v[40:41]
	v_mul_f64 v[40:41], v[70:71], v[146:147]
	v_fma_f64 v[26:27], v[56:57], v[196:197], v[84:85]
	v_fma_f64 v[124:125], v[64:65], v[176:177], v[12:13]
	v_add_f64 v[84:85], v[94:95], v[86:87]
	v_fma_f64 v[130:131], v[66:67], v[168:169], -v[14:15]
	ds_read_b128 v[12:15], v238 offset:13872
	v_fma_f64 v[62:63], v[70:71], v[144:145], -v[44:45]
	buffer_store_dword v144, off, s[60:63], 0 offset:884 ; 4-byte Folded Spill
	buffer_store_dword v145, off, s[60:63], 0 offset:888 ; 4-byte Folded Spill
	;; [unrolled: 1-line block ×4, first 2 shown]
	v_add_f64 v[86:87], v[96:97], v[90:91]
	v_fma_f64 v[58:59], v[0:1], v[140:141], -v[50:51]
	buffer_store_dword v140, off, s[60:63], 0 offset:868 ; 4-byte Folded Spill
	buffer_store_dword v141, off, s[60:63], 0 offset:872 ; 4-byte Folded Spill
	;; [unrolled: 1-line block ×4, first 2 shown]
	s_waitcnt vmcnt(2) lgkmcnt(1)
	v_mul_f64 v[44:45], v[10:11], v[109:110]
	v_mul_f64 v[50:51], v[8:9], v[109:110]
	v_fma_f64 v[128:129], v[68:69], v[168:169], v[42:43]
	v_mul_f64 v[42:43], v[6:7], v[113:114]
	v_fma_f64 v[24:25], v[54:55], v[196:197], -v[74:75]
	v_add_f64 v[98:99], v[78:79], v[80:81]
	v_add_f64 v[100:101], v[18:19], v[76:77]
	v_add_f64 v[94:95], v[102:103], -v[28:29]
	v_add_f64 v[90:91], v[96:97], -v[90:91]
	;; [unrolled: 1-line block ×4, first 2 shown]
	v_add_f64 v[142:143], v[122:123], v[126:127]
	v_add_f64 v[122:123], v[122:123], -v[126:127]
	v_add_f64 v[126:127], v[118:119], v[124:125]
	v_add_f64 v[156:157], v[32:33], -v[26:27]
	v_add_f64 v[124:125], v[118:119], -v[124:125]
	v_fma_f64 v[44:45], v[8:9], v[107:108], -v[44:45]
	v_fma_f64 v[56:57], v[4:5], v[111:112], -v[42:43]
	v_add_f64 v[146:147], v[34:35], v[24:25]
	v_add_f64 v[160:161], v[34:35], -v[24:25]
	v_mul_f64 v[18:19], v[90:91], s[26:27]
	v_fma_f64 v[18:19], v[96:97], s[24:25], v[18:19]
	v_fma_f64 v[18:19], v[76:77], s[0:1], v[18:19]
	;; [unrolled: 1-line block ×3, first 2 shown]
	v_mul_f64 v[40:41], v[4:5], v[113:114]
	buffer_store_dword v111, off, s[60:63], 0 offset:852 ; 4-byte Folded Spill
	buffer_store_dword v112, off, s[60:63], 0 offset:856 ; 4-byte Folded Spill
	;; [unrolled: 1-line block ×4, first 2 shown]
	v_fma_f64 v[54:55], v[2:3], v[140:141], v[52:53]
	ds_read_b128 v[0:3], v238 offset:16320
	buffer_store_dword v107, off, s[60:63], 0 offset:836 ; 4-byte Folded Spill
	buffer_store_dword v108, off, s[60:63], 0 offset:840 ; 4-byte Folded Spill
	;; [unrolled: 1-line block ×4, first 2 shown]
	s_waitcnt vmcnt(1) lgkmcnt(1)
	v_mul_f64 v[4:5], v[14:15], v[154:155]
	v_add_f64 v[140:141], v[120:121], v[130:131]
	v_add_f64 v[120:121], v[120:121], -v[130:131]
	v_add_f64 v[130:131], v[116:117], v[128:129]
	v_add_f64 v[144:145], v[36:37], v[46:47]
	v_add_f64 v[36:37], v[36:37], -v[46:47]
	v_add_f64 v[128:129], v[116:117], -v[128:129]
	s_waitcnt vmcnt(0) lgkmcnt(0)
	v_mul_f64 v[8:9], v[2:3], v[150:151]
	v_fma_f64 v[66:67], v[0:1], v[148:149], -v[8:9]
	v_fma_f64 v[52:53], v[6:7], v[111:112], v[40:41]
	v_mul_f64 v[6:7], v[12:13], v[154:155]
	v_add_f64 v[110:111], v[78:79], -v[80:81]
	v_fma_f64 v[40:41], v[10:11], v[107:108], v[50:51]
	v_fma_f64 v[50:51], v[12:13], v[152:153], -v[4:5]
	buffer_store_dword v152, off, s[60:63], 0 offset:916 ; 4-byte Folded Spill
	buffer_store_dword v153, off, s[60:63], 0 offset:920 ; 4-byte Folded Spill
	;; [unrolled: 1-line block ×4, first 2 shown]
	v_mul_f64 v[4:5], v[0:1], v[150:151]
	buffer_store_dword v148, off, s[60:63], 0 offset:900 ; 4-byte Folded Spill
	buffer_store_dword v149, off, s[60:63], 0 offset:904 ; 4-byte Folded Spill
	;; [unrolled: 1-line block ×4, first 2 shown]
	v_add_f64 v[108:109], v[102:103], v[28:29]
	v_add_f64 v[102:103], v[20:21], v[82:83]
	;; [unrolled: 1-line block ×4, first 2 shown]
	v_add_f64 v[38:39], v[38:39], -v[48:49]
	v_add_f64 v[48:49], v[56:57], v[66:67]
	v_add_f64 v[56:57], v[56:57], -v[66:67]
	v_add_f64 v[112:113], v[108:109], v[84:85]
	v_fma_f64 v[42:43], v[14:15], v[152:153], v[6:7]
	global_load_dwordx4 v[6:9], v106, s[4:5] offset:640
	v_fma_f64 v[64:65], v[2:3], v[148:149], v[4:5]
	ds_read_b128 v[0:3], v238 offset:18768
	v_add_f64 v[148:149], v[142:143], v[140:141]
	v_add_f64 v[152:153], v[32:33], v[26:27]
	v_add_f64 v[46:47], v[144:145], v[148:149]
	v_add_f64 v[116:117], v[152:153], v[154:155]
	v_add_f64 v[34:35], v[34:35], v[46:47]
	v_add_f64 v[46:47], v[150:151], v[154:155]
	v_add_f64 v[24:25], v[24:25], v[34:35]
	v_add_f64 v[32:33], v[32:33], v[46:47]
	v_add_f64 v[26:27], v[26:27], v[32:33]
	s_waitcnt vmcnt(0) lgkmcnt(0)
	v_mul_f64 v[4:5], v[2:3], v[8:9]
	v_fma_f64 v[68:69], v[0:1], v[6:7], -v[4:5]
	v_mul_f64 v[0:1], v[0:1], v[8:9]
	buffer_store_dword v6, off, s[60:63], 0 offset:932 ; 4-byte Folded Spill
	buffer_store_dword v7, off, s[60:63], 0 offset:936 ; 4-byte Folded Spill
	;; [unrolled: 1-line block ×4, first 2 shown]
	v_add_f64 v[46:47], v[58:59], -v[68:69]
	v_fma_f64 v[70:71], v[2:3], v[6:7], v[0:1]
	global_load_dwordx4 v[6:9], v106, s[4:5] offset:656
	ds_read_b128 v[0:3], v238 offset:21216
	v_add_f64 v[106:107], v[104:105], v[30:31]
	v_add_f64 v[104:105], v[20:21], -v[82:83]
	v_add_f64 v[114:115], v[106:107], v[86:87]
	s_waitcnt vmcnt(0) lgkmcnt(0)
	v_mul_f64 v[4:5], v[2:3], v[8:9]
	v_fma_f64 v[72:73], v[0:1], v[6:7], -v[4:5]
	v_mul_f64 v[0:1], v[0:1], v[8:9]
	buffer_store_dword v6, off, s[60:63], 0 offset:948 ; 4-byte Folded Spill
	buffer_store_dword v7, off, s[60:63], 0 offset:952 ; 4-byte Folded Spill
	;; [unrolled: 1-line block ×4, first 2 shown]
	ds_read_b128 v[8:11], v238
	v_add_f64 v[4:5], v[102:103], v[114:115]
	v_fma_f64 v[74:75], v[2:3], v[6:7], v[0:1]
	v_add_f64 v[2:3], v[98:99], v[112:113]
	v_add_f64 v[112:113], v[92:93], v[112:113]
	s_waitcnt lgkmcnt(0)
	v_add_f64 v[0:1], v[8:9], v[92:93]
	v_add_f64 v[6:7], v[110:111], v[88:89]
	;; [unrolled: 1-line block ×4, first 2 shown]
	v_fma_f64 v[0:1], v[2:3], -0.5, v[0:1]
	v_add_f64 v[2:3], v[10:11], v[100:101]
	v_add_f64 v[6:7], v[6:7], -v[94:95]
	v_add_f64 v[78:79], v[80:81], v[78:79]
	v_add_f64 v[20:21], v[20:21], v[112:113]
	v_fma_f64 v[2:3], v[4:5], -0.5, v[2:3]
	v_add_f64 v[4:5], v[104:105], v[90:91]
	v_add_f64 v[78:79], v[8:9], v[78:79]
	;; [unrolled: 1-line block ×3, first 2 shown]
	v_fma_f64 v[82:83], v[106:107], s[30:31], v[10:11]
	v_fma_f64 v[14:15], v[6:7], s[2:3], v[2:3]
	v_add_f64 v[4:5], v[4:5], -v[96:97]
	v_mul_f64 v[2:3], v[6:7], s[0:1]
	v_add_f64 v[80:81], v[10:11], v[20:21]
	v_fma_f64 v[20:21], v[84:85], s[30:31], v[8:9]
	v_fma_f64 v[82:83], v[102:103], s[22:23], v[82:83]
	;; [unrolled: 1-line block ×3, first 2 shown]
	v_mul_f64 v[0:1], v[4:5], s[0:1]
	ds_read_b128 v[4:7], v238 offset:816
	ds_read_b128 v[28:31], v238 offset:1632
	s_waitcnt lgkmcnt(0)
	s_waitcnt_vscnt null, 0x0
	s_barrier
	buffer_gl0_inv
	v_fma_f64 v[2:3], v[2:3], 2.0, v[14:15]
	ds_write_b128 v238, v[78:81]
	v_add_f64 v[78:79], v[16:17], -v[22:23]
	v_mul_f64 v[16:17], v[88:89], s[26:27]
	v_fma_f64 v[22:23], v[86:87], s[30:31], v[10:11]
	v_fma_f64 v[20:21], v[108:109], s[22:23], v[20:21]
	v_fma_f64 v[0:1], v[0:1], -2.0, v[12:13]
	ds_write_b128 v238, v[12:15] offset:2448
	v_add_f64 v[12:13], v[4:5], v[144:145]
	v_add_f64 v[14:15], v[146:147], v[148:149]
	;; [unrolled: 1-line block ×3, first 2 shown]
	v_fma_f64 v[66:67], v[142:143], s[30:31], v[4:5]
	v_add_f64 v[26:27], v[6:7], v[26:27]
	v_fma_f64 v[16:17], v[94:95], s[24:25], v[16:17]
	v_fma_f64 v[22:23], v[106:107], s[22:23], v[22:23]
	v_fma_f64 v[20:21], v[92:93], -0.5, v[20:21]
	ds_write_b128 v238, v[0:3] offset:4896
	v_fma_f64 v[12:13], v[14:15], -0.5, v[12:13]
	v_add_f64 v[14:15], v[6:7], v[150:151]
	v_fma_f64 v[16:17], v[78:79], s[0:1], v[16:17]
	v_fma_f64 v[22:23], v[100:101], -0.5, v[22:23]
	v_fma_f64 v[14:15], v[116:117], -0.5, v[14:15]
	v_add_f64 v[116:117], v[156:157], v[128:129]
	v_fma_f64 v[80:81], v[110:111], s[20:21], v[16:17]
	v_fma_f64 v[16:17], v[104:105], s[20:21], v[18:19]
	;; [unrolled: 1-line block ×4, first 2 shown]
	v_add_f64 v[158:159], v[116:117], -v[124:125]
	v_add_f64 v[116:117], v[160:161], v[120:121]
	v_add_f64 v[20:21], v[16:17], v[18:19]
	v_add_f64 v[22:23], v[22:23], -v[80:81]
	v_add_f64 v[162:163], v[116:117], -v[122:123]
	v_fma_f64 v[116:117], v[158:159], s[0:1], v[12:13]
	v_mul_f64 v[12:13], v[158:159], s[0:1]
	v_fma_f64 v[16:17], v[16:17], -2.0, v[20:21]
	v_fma_f64 v[18:19], v[80:81], 2.0, v[22:23]
	ds_write_b128 v238, v[20:23] offset:816
	v_fma_f64 v[20:21], v[98:99], s[30:31], v[8:9]
	v_fma_f64 v[22:23], v[102:103], s[30:31], v[10:11]
	;; [unrolled: 1-line block ×4, first 2 shown]
	v_mul_f64 v[14:15], v[162:163], s[0:1]
	v_fma_f64 v[12:13], v[12:13], -2.0, v[116:117]
	v_fma_f64 v[8:9], v[84:85], s[22:23], v[20:21]
	v_fma_f64 v[10:11], v[86:87], s[22:23], v[22:23]
	v_mul_f64 v[20:21], v[104:105], s[28:29]
	v_mul_f64 v[22:23], v[110:111], s[28:29]
	v_fma_f64 v[80:81], v[98:99], s[22:23], v[80:81]
	v_fma_f64 v[14:15], v[14:15], 2.0, v[118:119]
	ds_write_b128 v238, v[116:119] offset:9792
	v_fma_f64 v[8:9], v[92:93], -0.5, v[8:9]
	v_fma_f64 v[10:11], v[100:101], -0.5, v[10:11]
	v_fma_f64 v[20:21], v[90:91], s[24:25], v[20:21]
	v_fma_f64 v[22:23], v[88:89], s[24:25], v[22:23]
	;; [unrolled: 1-line block ×8, first 2 shown]
	v_add_f64 v[20:21], v[106:107], v[8:9]
	v_add_f64 v[22:23], v[10:11], -v[108:109]
	v_fma_f64 v[8:9], v[106:107], -2.0, v[20:21]
	v_fma_f64 v[10:11], v[108:109], 2.0, v[22:23]
	ds_write_b128 v238, v[20:23] offset:1632
	v_mul_f64 v[20:21], v[110:111], s[24:25]
	v_mul_f64 v[22:23], v[104:105], s[24:25]
	v_fma_f64 v[20:21], v[94:95], s[28:29], -v[20:21]
	v_fma_f64 v[22:23], v[96:97], s[28:29], -v[22:23]
	v_fma_f64 v[20:21], v[78:79], s[0:1], v[20:21]
	v_fma_f64 v[22:23], v[76:77], s[0:1], v[22:23]
	v_fma_f64 v[76:77], v[92:93], -0.5, v[80:81]
	v_fma_f64 v[78:79], v[100:101], -0.5, v[82:83]
	v_add_f64 v[82:83], v[60:61], v[74:75]
	v_add_f64 v[92:93], v[28:29], v[48:49]
	v_mul_f64 v[100:101], v[160:161], s[24:25]
	v_fma_f64 v[80:81], v[88:89], s[20:21], v[20:21]
	v_fma_f64 v[20:21], v[90:91], s[20:21], v[22:23]
	;; [unrolled: 1-line block ×4, first 2 shown]
	v_add_f64 v[86:87], v[62:63], -v[72:73]
	v_add_f64 v[88:89], v[60:61], -v[74:75]
	v_add_f64 v[74:75], v[54:55], v[70:71]
	v_add_f64 v[54:55], v[54:55], -v[70:71]
	v_add_f64 v[70:71], v[40:41], v[42:43]
	v_fma_f64 v[100:101], v[122:123], s[28:29], -v[100:101]
	v_add_f64 v[76:77], v[20:21], v[22:23]
	v_add_f64 v[78:79], v[78:79], -v[80:81]
	v_fma_f64 v[98:99], v[74:75], s[30:31], v[30:31]
	v_fma_f64 v[90:91], v[70:71], s[30:31], v[30:31]
	v_fma_f64 v[100:101], v[36:37], s[0:1], v[100:101]
	v_fma_f64 v[20:21], v[20:21], -2.0, v[76:77]
	ds_write_b128 v238, v[76:79] offset:3264
	v_add_f64 v[76:77], v[62:63], v[72:73]
	v_add_f64 v[72:73], v[58:59], v[68:69]
	v_fma_f64 v[22:23], v[80:81], 2.0, v[78:79]
	v_add_f64 v[58:59], v[52:53], v[64:65]
	v_add_f64 v[78:79], v[44:45], -v[50:51]
	v_add_f64 v[80:81], v[40:41], -v[42:43]
	v_fma_f64 v[62:63], v[146:147], s[30:31], v[4:5]
	v_add_f64 v[52:53], v[52:53], -v[64:65]
	v_fma_f64 v[64:65], v[152:153], s[30:31], v[6:7]
	v_fma_f64 v[68:69], v[126:127], s[30:31], v[6:7]
	v_add_f64 v[32:33], v[72:73], v[76:77]
	v_fma_f64 v[96:97], v[72:73], s[30:31], v[28:29]
	v_add_f64 v[94:95], v[30:31], v[58:59]
	v_add_f64 v[34:35], v[48:49], v[32:33]
	;; [unrolled: 1-line block ×6, first 2 shown]
	v_fma_f64 v[84:85], v[44:45], s[30:31], v[28:29]
	v_add_f64 v[60:61], v[58:59], v[50:51]
	v_add_f64 v[60:61], v[40:41], v[60:61]
	v_fma_f64 v[40:41], v[140:141], s[30:31], v[4:5]
	v_add_f64 v[4:5], v[28:29], v[34:35]
	v_fma_f64 v[34:35], v[76:77], s[30:31], v[28:29]
	v_mul_f64 v[28:29], v[120:121], s[26:27]
	v_add_f64 v[60:61], v[42:43], v[60:61]
	v_fma_f64 v[42:43], v[130:131], s[30:31], v[6:7]
	v_fma_f64 v[28:29], v[122:123], s[24:25], v[28:29]
	v_add_f64 v[6:7], v[30:31], v[60:61]
	v_fma_f64 v[60:61], v[82:83], s[30:31], v[30:31]
	v_mul_f64 v[30:31], v[160:161], s[28:29]
	v_fma_f64 v[102:103], v[36:37], s[0:1], v[28:29]
	v_mul_f64 v[28:29], v[128:129], s[26:27]
	v_fma_f64 v[30:31], v[120:121], s[24:25], v[30:31]
	v_fma_f64 v[28:29], v[124:125], s[24:25], v[28:29]
	;; [unrolled: 1-line block ×3, first 2 shown]
	v_mul_f64 v[30:31], v[156:157], s[28:29]
	v_mul_f64 v[36:37], v[156:157], s[24:25]
	v_fma_f64 v[106:107], v[38:39], s[0:1], v[28:29]
	v_fma_f64 v[28:29], v[142:143], s[22:23], v[40:41]
	;; [unrolled: 1-line block ×3, first 2 shown]
	v_fma_f64 v[36:37], v[124:125], s[28:29], -v[36:37]
	v_fma_f64 v[108:109], v[38:39], s[2:3], v[30:31]
	v_fma_f64 v[110:111], v[38:39], s[0:1], v[36:37]
	;; [unrolled: 1-line block ×4, first 2 shown]
	v_fma_f64 v[38:39], v[144:145], -0.5, v[28:29]
	v_fma_f64 v[28:29], v[126:127], s[22:23], v[42:43]
	v_fma_f64 v[40:41], v[144:145], -0.5, v[30:31]
	v_fma_f64 v[66:67], v[144:145], -0.5, v[36:37]
	v_fma_f64 v[30:31], v[130:131], s[22:23], v[64:65]
	v_fma_f64 v[36:37], v[152:153], s[22:23], v[68:69]
	v_fma_f64 v[42:43], v[150:151], -0.5, v[28:29]
	v_add_f64 v[28:29], v[44:45], v[32:33]
	v_mul_f64 v[32:33], v[86:87], s[26:27]
	v_fma_f64 v[64:65], v[140:141], s[18:19], v[66:67]
	v_fma_f64 v[62:63], v[150:151], -0.5, v[30:31]
	v_fma_f64 v[68:69], v[150:151], -0.5, v[36:37]
	v_add_f64 v[30:31], v[70:71], v[50:51]
	v_mul_f64 v[36:37], v[78:79], s[28:29]
	v_fma_f64 v[32:33], v[46:47], s[24:25], v[32:33]
	v_mul_f64 v[50:51], v[78:79], s[24:25]
	v_fma_f64 v[28:29], v[28:29], -0.5, v[92:93]
	v_fma_f64 v[62:63], v[126:127], s[18:19], v[62:63]
	v_fma_f64 v[66:67], v[130:131], s[18:19], v[68:69]
	v_fma_f64 v[30:31], v[30:31], -0.5, v[94:95]
	v_fma_f64 v[36:37], v[86:87], s[24:25], v[36:37]
	v_fma_f64 v[92:93], v[56:57], s[0:1], v[32:33]
	v_fma_f64 v[50:51], v[46:47], s[28:29], -v[50:51]
	v_mul_f64 v[32:33], v[88:89], s[26:27]
	v_fma_f64 v[94:95], v[56:57], s[2:3], v[36:37]
	v_mul_f64 v[36:37], v[80:81], s[28:29]
	v_fma_f64 v[112:113], v[56:57], s[0:1], v[50:51]
	v_fma_f64 v[32:33], v[54:55], s[24:25], v[32:33]
	v_mul_f64 v[50:51], v[80:81], s[24:25]
	v_fma_f64 v[56:57], v[146:147], s[18:19], v[38:39]
	v_fma_f64 v[38:39], v[124:125], s[20:21], v[108:109]
	v_fma_f64 v[36:37], v[88:89], s[24:25], v[36:37]
	v_fma_f64 v[114:115], v[52:53], s[0:1], v[32:33]
	v_fma_f64 v[50:51], v[54:55], s[28:29], -v[50:51]
	v_fma_f64 v[32:33], v[72:73], s[22:23], v[34:35]
	v_fma_f64 v[34:35], v[76:77], s[22:23], v[84:85]
	;; [unrolled: 1-line block ×5, first 2 shown]
	v_fma_f64 v[50:51], v[48:49], -0.5, v[32:33]
	v_fma_f64 v[32:33], v[74:75], s[22:23], v[60:61]
	v_fma_f64 v[52:53], v[48:49], -0.5, v[34:35]
	v_fma_f64 v[34:35], v[82:83], s[22:23], v[90:91]
	v_fma_f64 v[60:61], v[142:143], s[18:19], v[40:41]
	;; [unrolled: 1-line block ×3, first 2 shown]
	v_fma_f64 v[96:97], v[48:49], -0.5, v[36:37]
	v_fma_f64 v[36:37], v[70:71], s[22:23], v[98:99]
	v_fma_f64 v[68:69], v[44:45], s[18:19], v[50:51]
	v_fma_f64 v[48:49], v[58:59], -0.5, v[32:33]
	v_add_f64 v[50:51], v[80:81], v[88:89]
	v_fma_f64 v[90:91], v[58:59], -0.5, v[34:35]
	v_fma_f64 v[32:33], v[160:161], s[20:21], v[102:103]
	v_fma_f64 v[34:35], v[156:157], s[20:21], v[106:107]
	;; [unrolled: 1-line block ×5, first 2 shown]
	v_add_f64 v[60:61], v[38:39], v[60:61]
	v_add_f64 v[66:67], v[66:67], -v[40:41]
	v_lshlrev_b32_e32 v92, 5, v138
	v_fma_f64 v[76:77], v[76:77], s[18:19], v[96:97]
	v_fma_f64 v[84:85], v[58:59], -0.5, v[36:37]
	v_fma_f64 v[58:59], v[152:153], s[18:19], v[42:43]
	v_fma_f64 v[36:37], v[122:123], s[20:21], v[104:105]
	;; [unrolled: 1-line block ×3, first 2 shown]
	v_add_f64 v[48:49], v[78:79], v[86:87]
	v_fma_f64 v[42:43], v[128:129], s[20:21], v[110:111]
	v_fma_f64 v[74:75], v[74:75], s[18:19], v[90:91]
	v_add_f64 v[56:57], v[34:35], v[56:57]
	v_lshlrev_b32_e32 v86, 5, v210
	v_lshlrev_b32_e32 v87, 5, v244
	;; [unrolled: 1-line block ×3, first 2 shown]
	v_fma_f64 v[82:83], v[82:83], s[18:19], v[84:85]
	v_add_f64 v[58:59], v[58:59], -v[32:33]
	v_add_f64 v[62:63], v[62:63], -v[36:37]
	;; [unrolled: 1-line block ×4, first 2 shown]
	v_fma_f64 v[48:49], v[80:81], s[20:21], v[114:115]
	v_add_f64 v[80:81], v[50:51], -v[54:55]
	v_fma_f64 v[50:51], v[54:55], s[20:21], v[116:117]
	v_fma_f64 v[54:55], v[88:89], s[20:21], v[118:119]
	;; [unrolled: 1-line block ×3, first 2 shown]
	v_add_f64 v[64:65], v[42:43], v[64:65]
	v_add_co_u32 v88, s19, s4, v86
	v_add_co_ci_u32_e64 v89, null, s5, 0, s19
	v_add_co_u32 v90, s18, s4, v87
	v_add_co_ci_u32_e64 v93, null, s5, 0, s18
	v_mul_f64 v[84:85], v[78:79], s[0:1]
	v_fma_f64 v[30:31], v[78:79], s[2:3], v[30:31]
	v_fma_f64 v[28:29], v[80:81], s[0:1], v[28:29]
	v_mul_f64 v[80:81], v[80:81], s[0:1]
	v_add_f64 v[68:69], v[48:49], v[68:69]
	v_add_f64 v[72:73], v[50:51], v[72:73]
	;; [unrolled: 1-line block ×3, first 2 shown]
	v_add_f64 v[78:79], v[82:83], -v[52:53]
	v_add_f64 v[74:75], v[74:75], -v[46:47]
	v_fma_f64 v[82:83], v[32:33], 2.0, v[58:59]
	v_fma_f64 v[32:33], v[38:39], -2.0, v[60:61]
	v_fma_f64 v[38:39], v[40:41], 2.0, v[66:67]
	v_add_co_u32 v86, s0, 0x1ba0, v88
	v_add_co_u32 v88, s1, 0x1800, v88
	v_add_co_ci_u32_e64 v87, s0, 0, v89, s0
	v_add_co_ci_u32_e64 v89, s0, 0, v89, s1
	v_fma_f64 v[2:3], v[84:85], 2.0, v[30:31]
	v_fma_f64 v[0:1], v[80:81], -2.0, v[28:29]
	v_fma_f64 v[80:81], v[34:35], -2.0, v[56:57]
	v_fma_f64 v[34:35], v[36:37], 2.0, v[62:63]
	v_fma_f64 v[36:37], v[42:43], -2.0, v[64:65]
	v_fma_f64 v[40:41], v[48:49], -2.0, v[68:69]
	;; [unrolled: 3-line block ×3, first 2 shown]
	v_fma_f64 v[50:51], v[52:53], 2.0, v[78:79]
	v_fma_f64 v[46:47], v[46:47], 2.0, v[74:75]
	ds_write_b128 v238, v[24:27] offset:7344
	ds_write_b128 v238, v[56:59] offset:8160
	;; [unrolled: 1-line block ×20, first 2 shown]
	s_waitcnt lgkmcnt(0)
	s_barrier
	buffer_gl0_inv
	global_load_dwordx4 v[8:11], v[88:89], off offset:928
	v_add_co_u32 v52, s2, 0x1ba0, v90
	v_add_co_u32 v54, s0, 0x1800, v90
	;; [unrolled: 1-line block ×3, first 2 shown]
	v_add_co_ci_u32_e64 v55, s0, 0, v93, s0
	v_add_co_ci_u32_e64 v53, s0, 0, v93, s2
	v_add_co_ci_u32_e64 v2, null, s5, 0, s1
	v_add_co_u32 v1, s0, s4, v92
	v_add_co_ci_u32_e64 v3, null, s5, 0, s0
	v_add_co_u32 v4, s0, 0x1800, v0
	v_add_co_ci_u32_e64 v5, s0, 0, v2, s0
	v_add_co_u32 v6, s0, 0x1ba0, v0
	v_add_co_ci_u32_e64 v7, s0, 0, v2, s0
	v_lshlrev_b32_e32 v0, 5, v136
	s_clause 0x3
	global_load_dwordx4 v[74:77], v[86:87], off offset:16
	global_load_dwordx4 v[82:85], v[54:55], off offset:928
	;; [unrolled: 1-line block ×4, first 2 shown]
	v_add_co_u32 v4, s0, 0x1800, v1
	v_add_co_ci_u32_e64 v5, s0, 0, v3, s0
	v_add_co_u32 v0, s0, s4, v0
	s_clause 0x1
	global_load_dwordx4 v[90:93], v[6:7], off offset:16
	global_load_dwordx4 v[12:15], v[4:5], off offset:928
	v_add_co_ci_u32_e64 v2, null, s5, 0, s0
	v_add_co_u32 v4, s0, 0x1ba0, v1
	v_add_co_ci_u32_e64 v5, s0, 0, v3, s0
	v_add_co_u32 v6, s0, 0x1800, v0
	v_add_co_ci_u32_e64 v7, s0, 0, v2, s0
	s_clause 0x1
	global_load_dwordx4 v[98:101], v[4:5], off offset:16
	global_load_dwordx4 v[94:97], v[6:7], off offset:928
	v_add_co_u32 v4, s0, 0x1ba0, v0
	v_lshlrev_b32_e32 v0, 5, v135
	v_add_co_ci_u32_e64 v5, s0, 0, v2, s0
	v_add_co_u32 v0, s0, s4, v0
	v_add_co_ci_u32_e64 v1, null, s5, 0, s0
	global_load_dwordx4 v[2:5], v[4:5], off offset:16
	v_add_co_u32 v16, s0, 0x1800, v0
	v_add_co_ci_u32_e64 v17, s0, 0, v1, s0
	v_add_co_u32 v68, s0, 0x1ba0, v0
	v_add_co_ci_u32_e64 v69, s0, 0, v1, s0
	global_load_dwordx4 v[16:19], v[16:17], off offset:928
	ds_read_b128 v[20:23], v238 offset:7344
	ds_read_b128 v[24:27], v238 offset:14688
	;; [unrolled: 1-line block ×8, first 2 shown]
	v_lshlrev_b32_e32 v0, 5, v132
	v_add_co_u32 v0, s0, s4, v0
	v_add_co_ci_u32_e64 v1, null, s5, 0, s0
	s_waitcnt vmcnt(10) lgkmcnt(7)
	v_mul_f64 v[52:53], v[22:23], v[10:11]
	v_mul_f64 v[54:55], v[20:21], v[10:11]
	v_fma_f64 v[52:53], v[20:21], v[8:9], -v[52:53]
	buffer_store_dword v8, off, s[60:63], 0 offset:964 ; 4-byte Folded Spill
	buffer_store_dword v9, off, s[60:63], 0 offset:968 ; 4-byte Folded Spill
	;; [unrolled: 1-line block ×4, first 2 shown]
	s_waitcnt vmcnt(9) lgkmcnt(6)
	v_mul_f64 v[56:57], v[26:27], v[76:77]
	s_waitcnt vmcnt(8) lgkmcnt(5)
	v_mul_f64 v[60:61], v[30:31], v[84:85]
	;; [unrolled: 2-line block ×3, first 2 shown]
	v_mul_f64 v[58:59], v[24:25], v[76:77]
	s_waitcnt vmcnt(6) lgkmcnt(3)
	v_mul_f64 v[70:71], v[38:39], v[88:89]
	v_mul_f64 v[62:63], v[28:29], v[84:85]
	;; [unrolled: 1-line block ×4, first 2 shown]
	v_fma_f64 v[56:57], v[24:25], v[74:75], -v[56:57]
	buffer_store_dword v74, off, s[60:63], 0 offset:1060 ; 4-byte Folded Spill
	buffer_store_dword v75, off, s[60:63], 0 offset:1064 ; 4-byte Folded Spill
	buffer_store_dword v76, off, s[60:63], 0 offset:1068 ; 4-byte Folded Spill
	buffer_store_dword v77, off, s[60:63], 0 offset:1072 ; 4-byte Folded Spill
	v_fma_f64 v[60:61], v[28:29], v[82:83], -v[60:61]
	buffer_store_dword v82, off, s[60:63], 0 offset:1012 ; 4-byte Folded Spill
	buffer_store_dword v83, off, s[60:63], 0 offset:1016 ; 4-byte Folded Spill
	buffer_store_dword v84, off, s[60:63], 0 offset:1020 ; 4-byte Folded Spill
	buffer_store_dword v85, off, s[60:63], 0 offset:1024 ; 4-byte Folded Spill
	;; [unrolled: 5-line block ×3, first 2 shown]
	v_fma_f64 v[70:71], v[36:37], v[86:87], -v[70:71]
	s_waitcnt vmcnt(4) lgkmcnt(2)
	v_mul_f64 v[28:29], v[46:47], v[14:15]
	s_waitcnt lgkmcnt(1)
	v_mul_f64 v[76:77], v[40:41], v[92:93]
	s_waitcnt vmcnt(3) lgkmcnt(0)
	v_mul_f64 v[32:33], v[50:51], v[100:101]
	v_fma_f64 v[114:115], v[48:49], v[98:99], -v[32:33]
	v_fma_f64 v[54:55], v[22:23], v[8:9], v[54:55]
	ds_read_b128 v[20:23], v238 offset:10608
	buffer_store_dword v86, off, s[60:63], 0 offset:1028 ; 4-byte Folded Spill
	buffer_store_dword v87, off, s[60:63], 0 offset:1032 ; 4-byte Folded Spill
	;; [unrolled: 1-line block ×4, first 2 shown]
	v_add_f64 v[88:89], v[52:53], v[56:57]
	v_fma_f64 v[58:59], v[26:27], v[74:75], v[58:59]
	v_mul_f64 v[74:75], v[42:43], v[92:93]
	v_fma_f64 v[62:63], v[30:31], v[82:83], v[62:63]
	v_mul_f64 v[30:31], v[44:45], v[14:15]
	ds_read_b128 v[24:27], v238 offset:17952
	v_fma_f64 v[66:67], v[34:35], v[78:79], v[66:67]
	v_mul_f64 v[34:35], v[48:49], v[100:101]
	v_fma_f64 v[74:75], v[40:41], v[90:91], -v[74:75]
	buffer_store_dword v90, off, s[60:63], 0 offset:1044 ; 4-byte Folded Spill
	buffer_store_dword v91, off, s[60:63], 0 offset:1048 ; 4-byte Folded Spill
	;; [unrolled: 1-line block ×4, first 2 shown]
	s_waitcnt vmcnt(1) lgkmcnt(0)
	v_mul_f64 v[32:33], v[26:27], v[4:5]
	v_fma_f64 v[124:125], v[24:25], v[2:3], -v[32:33]
	v_fma_f64 v[72:73], v[38:39], v[86:87], v[72:73]
	v_fma_f64 v[86:87], v[44:45], v[12:13], -v[28:29]
	buffer_store_dword v12, off, s[60:63], 0 offset:980 ; 4-byte Folded Spill
	buffer_store_dword v13, off, s[60:63], 0 offset:984 ; 4-byte Folded Spill
	;; [unrolled: 1-line block ×4, first 2 shown]
	v_mul_f64 v[28:29], v[22:23], v[96:97]
	buffer_store_dword v98, off, s[60:63], 0 offset:1108 ; 4-byte Folded Spill
	buffer_store_dword v99, off, s[60:63], 0 offset:1112 ; 4-byte Folded Spill
	;; [unrolled: 1-line block ×4, first 2 shown]
	v_fma_f64 v[120:121], v[20:21], v[94:95], -v[28:29]
	v_fma_f64 v[84:85], v[42:43], v[90:91], v[76:77]
	v_add_f64 v[90:91], v[54:55], v[58:59]
	v_fma_f64 v[112:113], v[46:47], v[12:13], v[30:31]
	v_mul_f64 v[30:31], v[20:21], v[96:97]
	buffer_store_dword v94, off, s[60:63], 0 offset:1092 ; 4-byte Folded Spill
	buffer_store_dword v95, off, s[60:63], 0 offset:1096 ; 4-byte Folded Spill
	;; [unrolled: 1-line block ×4, first 2 shown]
	v_fma_f64 v[116:117], v[50:51], v[98:99], v[34:35]
	v_mul_f64 v[34:35], v[24:25], v[4:5]
	v_fma_f64 v[122:123], v[22:23], v[94:95], v[30:31]
	ds_read_b128 v[20:23], v238 offset:11424
	buffer_store_dword v2, off, s[60:63], 0 offset:1076 ; 4-byte Folded Spill
	buffer_store_dword v3, off, s[60:63], 0 offset:1080 ; 4-byte Folded Spill
	;; [unrolled: 1-line block ×4, first 2 shown]
	s_waitcnt vmcnt(0) lgkmcnt(0)
	v_mul_f64 v[24:25], v[22:23], v[18:19]
	v_fma_f64 v[156:157], v[20:21], v[16:17], -v[24:25]
	v_fma_f64 v[126:127], v[26:27], v[2:3], v[34:35]
	v_mul_f64 v[26:27], v[20:21], v[18:19]
	buffer_store_dword v16, off, s[60:63], 0 offset:1124 ; 4-byte Folded Spill
	buffer_store_dword v17, off, s[60:63], 0 offset:1128 ; 4-byte Folded Spill
	;; [unrolled: 1-line block ×4, first 2 shown]
	global_load_dwordx4 v[44:47], v[68:69], off offset:16
	v_fma_f64 v[158:159], v[22:23], v[16:17], v[26:27]
	ds_read_b128 v[20:23], v238 offset:18768
	s_waitcnt vmcnt(0) lgkmcnt(0)
	v_mul_f64 v[24:25], v[22:23], v[46:47]
	v_fma_f64 v[68:69], v[20:21], v[44:45], -v[24:25]
	v_mul_f64 v[20:21], v[20:21], v[46:47]
	v_fma_f64 v[160:161], v[22:23], v[44:45], v[20:21]
	v_add_co_u32 v20, s0, 0x1800, v0
	v_add_co_ci_u32_e64 v21, s0, 0, v1, s0
	global_load_dwordx4 v[2:5], v[20:21], off offset:928
	ds_read_b128 v[20:23], v238 offset:12240
	s_waitcnt vmcnt(0) lgkmcnt(0)
	v_mul_f64 v[24:25], v[22:23], v[4:5]
	v_fma_f64 v[162:163], v[20:21], v[2:3], -v[24:25]
	v_mul_f64 v[20:21], v[20:21], v[4:5]
	buffer_store_dword v2, off, s[60:63], 0 offset:1204 ; 4-byte Folded Spill
	buffer_store_dword v3, off, s[60:63], 0 offset:1208 ; 4-byte Folded Spill
	;; [unrolled: 1-line block ×4, first 2 shown]
	v_fma_f64 v[164:165], v[22:23], v[2:3], v[20:21]
	v_add_co_u32 v20, s0, 0x1ba0, v0
	v_add_co_ci_u32_e64 v21, s0, 0, v1, s0
	global_load_dwordx4 v[0:3], v[20:21], off offset:16
	ds_read_b128 v[20:23], v238 offset:19584
	s_waitcnt vmcnt(0) lgkmcnt(0)
	v_mul_f64 v[24:25], v[22:23], v[2:3]
	v_fma_f64 v[166:167], v[20:21], v[0:1], -v[24:25]
	v_mul_f64 v[20:21], v[20:21], v[2:3]
	buffer_store_dword v0, off, s[60:63], 0 offset:1220 ; 4-byte Folded Spill
	buffer_store_dword v1, off, s[60:63], 0 offset:1224 ; 4-byte Folded Spill
	;; [unrolled: 1-line block ×4, first 2 shown]
	v_fma_f64 v[200:201], v[22:23], v[0:1], v[20:21]
	v_lshlrev_b32_e32 v0, 5, v133
	v_add_co_u32 v0, s0, s4, v0
	v_add_co_ci_u32_e64 v1, null, s5, 0, s0
	v_add_co_u32 v20, s0, 0x1800, v0
	v_add_co_ci_u32_e64 v21, s0, 0, v1, s0
	global_load_dwordx4 v[2:5], v[20:21], off offset:928
	ds_read_b128 v[20:23], v238 offset:13056
	s_waitcnt vmcnt(0) lgkmcnt(0)
	v_mul_f64 v[24:25], v[22:23], v[4:5]
	v_fma_f64 v[202:203], v[20:21], v[2:3], -v[24:25]
	v_mul_f64 v[20:21], v[20:21], v[4:5]
	buffer_store_dword v2, off, s[60:63], 0 offset:1188 ; 4-byte Folded Spill
	buffer_store_dword v3, off, s[60:63], 0 offset:1192 ; 4-byte Folded Spill
	;; [unrolled: 1-line block ×4, first 2 shown]
	v_fma_f64 v[204:205], v[22:23], v[2:3], v[20:21]
	v_add_co_u32 v20, s0, 0x1ba0, v0
	v_add_co_ci_u32_e64 v21, s0, 0, v1, s0
	global_load_dwordx4 v[0:3], v[20:21], off offset:16
	ds_read_b128 v[20:23], v238 offset:20400
	s_waitcnt vmcnt(0) lgkmcnt(0)
	v_mul_f64 v[28:29], v[22:23], v[2:3]
	v_fma_f64 v[206:207], v[20:21], v[0:1], -v[28:29]
	v_mul_f64 v[20:21], v[20:21], v[2:3]
	buffer_store_dword v0, off, s[60:63], 0 offset:1156 ; 4-byte Folded Spill
	buffer_store_dword v1, off, s[60:63], 0 offset:1160 ; 4-byte Folded Spill
	;; [unrolled: 1-line block ×4, first 2 shown]
	v_fma_f64 v[208:209], v[22:23], v[0:1], v[20:21]
	v_lshlrev_b32_e32 v0, 5, v134
	v_add_co_u32 v0, s0, s4, v0
	v_add_co_ci_u32_e64 v1, null, s5, 0, s0
	v_add_co_u32 v20, s0, 0x1800, v0
	v_add_co_ci_u32_e64 v21, s0, 0, v1, s0
	global_load_dwordx4 v[2:5], v[20:21], off offset:928
	ds_read_b128 v[20:23], v238 offset:13872
	s_waitcnt vmcnt(0) lgkmcnt(0)
	v_mul_f64 v[48:49], v[22:23], v[4:5]
	v_fma_f64 v[76:77], v[20:21], v[2:3], -v[48:49]
	v_mul_f64 v[20:21], v[20:21], v[4:5]
	buffer_store_dword v2, off, s[60:63], 0 offset:1172 ; 4-byte Folded Spill
	buffer_store_dword v3, off, s[60:63], 0 offset:1176 ; 4-byte Folded Spill
	;; [unrolled: 1-line block ×4, first 2 shown]
	ds_read_b128 v[48:51], v238 offset:21216
	v_fma_f64 v[80:81], v[22:23], v[2:3], v[20:21]
	v_add_co_u32 v20, s0, 0x1ba0, v0
	v_add_co_ci_u32_e64 v21, s0, 0, v1, s0
	global_load_dwordx4 v[0:3], v[20:21], off offset:16
	s_waitcnt vmcnt(0) lgkmcnt(0)
	v_mul_f64 v[78:79], v[50:51], v[2:3]
	v_fma_f64 v[78:79], v[48:49], v[0:1], -v[78:79]
	v_mul_f64 v[48:49], v[48:49], v[2:3]
	buffer_store_dword v0, off, s[60:63], 0 offset:1140 ; 4-byte Folded Spill
	buffer_store_dword v1, off, s[60:63], 0 offset:1144 ; 4-byte Folded Spill
	;; [unrolled: 1-line block ×4, first 2 shown]
	v_fma_f64 v[82:83], v[50:51], v[0:1], v[48:49]
	ds_read_b128 v[48:51], v238
	v_lshlrev_b32_e32 v0, 4, v210
	s_waitcnt lgkmcnt(0)
	v_fma_f64 v[88:89], v[88:89], -0.5, v[48:49]
	v_add_f64 v[48:49], v[48:49], v[52:53]
	v_fma_f64 v[90:91], v[90:91], -0.5, v[50:51]
	v_add_f64 v[50:51], v[50:51], v[54:55]
	v_add_f64 v[54:55], v[54:55], -v[58:59]
	v_add_f64 v[152:153], v[48:49], v[56:57]
	v_add_f64 v[48:49], v[52:53], -v[56:57]
	v_add_f64 v[52:53], v[60:61], v[64:65]
	v_add_f64 v[154:155], v[50:51], v[58:59]
	v_fma_f64 v[92:93], v[54:55], s[12:13], v[88:89]
	v_fma_f64 v[88:89], v[54:55], s[14:15], v[88:89]
	v_add_f64 v[54:55], v[62:63], v[66:67]
	v_add_f64 v[56:57], v[62:63], -v[66:67]
	v_fma_f64 v[94:95], v[48:49], s[14:15], v[90:91]
	v_fma_f64 v[90:91], v[48:49], s[12:13], v[90:91]
	ds_read_b128 v[48:51], v238 offset:816
	s_waitcnt lgkmcnt(0)
	v_fma_f64 v[52:53], v[52:53], -0.5, v[48:49]
	v_add_f64 v[48:49], v[48:49], v[60:61]
	v_fma_f64 v[54:55], v[54:55], -0.5, v[50:51]
	v_add_f64 v[50:51], v[50:51], v[62:63]
	v_fma_f64 v[100:101], v[56:57], s[12:13], v[52:53]
	v_add_f64 v[148:149], v[48:49], v[64:65]
	v_add_f64 v[48:49], v[60:61], -v[64:65]
	v_fma_f64 v[96:97], v[56:57], s[14:15], v[52:53]
	v_add_f64 v[52:53], v[70:71], v[74:75]
	v_add_f64 v[150:151], v[50:51], v[66:67]
	v_add_f64 v[56:57], v[72:73], -v[84:85]
	v_fma_f64 v[102:103], v[48:49], s[14:15], v[54:55]
	v_fma_f64 v[98:99], v[48:49], s[12:13], v[54:55]
	ds_read_b128 v[48:51], v238 offset:1632
	v_add_f64 v[54:55], v[72:73], v[84:85]
	s_waitcnt lgkmcnt(0)
	v_fma_f64 v[52:53], v[52:53], -0.5, v[48:49]
	v_add_f64 v[48:49], v[48:49], v[70:71]
	v_fma_f64 v[54:55], v[54:55], -0.5, v[50:51]
	v_add_f64 v[50:51], v[50:51], v[72:73]
	v_fma_f64 v[108:109], v[56:57], s[12:13], v[52:53]
	v_add_f64 v[144:145], v[48:49], v[74:75]
	v_add_f64 v[48:49], v[70:71], -v[74:75]
	v_fma_f64 v[104:105], v[56:57], s[14:15], v[52:53]
	v_add_f64 v[52:53], v[86:87], v[114:115]
	v_add_f64 v[146:147], v[50:51], v[84:85]
	v_add_f64 v[56:57], v[112:113], -v[116:117]
	v_fma_f64 v[110:111], v[48:49], s[14:15], v[54:55]
	v_fma_f64 v[106:107], v[48:49], s[12:13], v[54:55]
	ds_read_b128 v[48:51], v238 offset:2448
	v_add_f64 v[54:55], v[112:113], v[116:117]
	s_waitcnt lgkmcnt(0)
	v_fma_f64 v[52:53], v[52:53], -0.5, v[48:49]
	v_add_f64 v[48:49], v[48:49], v[86:87]
	v_fma_f64 v[54:55], v[54:55], -0.5, v[50:51]
	v_add_f64 v[50:51], v[50:51], v[112:113]
	v_fma_f64 v[112:113], v[56:57], s[14:15], v[52:53]
	v_add_f64 v[140:141], v[48:49], v[114:115]
	v_add_f64 v[48:49], v[86:87], -v[114:115]
	v_add_f64 v[86:87], v[204:205], -v[208:209]
	v_add_f64 v[142:143], v[50:51], v[116:117]
	v_fma_f64 v[116:117], v[56:57], s[12:13], v[52:53]
	v_add_f64 v[52:53], v[120:121], v[124:125]
	v_add_f64 v[56:57], v[122:123], -v[126:127]
	v_fma_f64 v[118:119], v[48:49], s[14:15], v[54:55]
	v_fma_f64 v[114:115], v[48:49], s[12:13], v[54:55]
	ds_read_b128 v[48:51], v238 offset:3264
	v_add_f64 v[54:55], v[122:123], v[126:127]
	s_waitcnt lgkmcnt(0)
	v_fma_f64 v[52:53], v[52:53], -0.5, v[48:49]
	v_add_f64 v[48:49], v[48:49], v[120:121]
	v_fma_f64 v[54:55], v[54:55], -0.5, v[50:51]
	v_add_f64 v[50:51], v[50:51], v[122:123]
	v_fma_f64 v[128:129], v[56:57], s[12:13], v[52:53]
	v_add_f64 v[136:137], v[48:49], v[124:125]
	v_add_f64 v[48:49], v[120:121], -v[124:125]
	v_fma_f64 v[124:125], v[56:57], s[14:15], v[52:53]
	v_add_f64 v[52:53], v[156:157], v[68:69]
	v_add_f64 v[138:139], v[50:51], v[126:127]
	v_add_f64 v[56:57], v[158:159], -v[160:161]
	v_fma_f64 v[130:131], v[48:49], s[14:15], v[54:55]
	v_fma_f64 v[126:127], v[48:49], s[12:13], v[54:55]
	ds_read_b128 v[48:51], v238 offset:4080
	v_add_f64 v[54:55], v[158:159], v[160:161]
	s_waitcnt lgkmcnt(0)
	v_fma_f64 v[52:53], v[52:53], -0.5, v[48:49]
	v_add_f64 v[48:49], v[48:49], v[156:157]
	v_fma_f64 v[54:55], v[54:55], -0.5, v[50:51]
	v_add_f64 v[50:51], v[50:51], v[158:159]
	v_fma_f64 v[120:121], v[56:57], s[12:13], v[52:53]
	v_add_f64 v[132:133], v[48:49], v[68:69]
	v_add_f64 v[48:49], v[156:157], -v[68:69]
	v_fma_f64 v[68:69], v[56:57], s[14:15], v[52:53]
	v_add_f64 v[52:53], v[162:163], v[166:167]
	v_add_f64 v[134:135], v[50:51], v[160:161]
	ds_read_b128 v[156:159], v238 offset:6528
	v_add_f64 v[56:57], v[164:165], -v[200:201]
	v_fma_f64 v[122:123], v[48:49], s[14:15], v[54:55]
	v_fma_f64 v[70:71], v[48:49], s[12:13], v[54:55]
	ds_read_b128 v[48:51], v238 offset:4896
	v_add_f64 v[54:55], v[164:165], v[200:201]
	s_waitcnt lgkmcnt(0)
	v_fma_f64 v[52:53], v[52:53], -0.5, v[48:49]
	v_add_f64 v[48:49], v[48:49], v[162:163]
	v_fma_f64 v[54:55], v[54:55], -0.5, v[50:51]
	v_add_f64 v[50:51], v[50:51], v[164:165]
	v_fma_f64 v[64:65], v[56:57], s[12:13], v[52:53]
	v_add_f64 v[72:73], v[48:49], v[166:167]
	v_add_f64 v[48:49], v[162:163], -v[166:167]
	v_fma_f64 v[60:61], v[56:57], s[14:15], v[52:53]
	v_add_f64 v[52:53], v[202:203], v[206:207]
	v_add_f64 v[74:75], v[50:51], v[200:201]
	v_fma_f64 v[66:67], v[48:49], s[14:15], v[54:55]
	v_fma_f64 v[62:63], v[48:49], s[12:13], v[54:55]
	ds_read_b128 v[48:51], v238 offset:5712
	ds_write_b128 v238, v[152:155]
	ds_write_b128 v238, v[148:151] offset:816
	ds_write_b128 v238, v[144:147] offset:1632
	;; [unrolled: 1-line block ×16, first 2 shown]
	v_add_co_u32 v118, s0, s16, v0
	v_add_co_ci_u32_e64 v119, null, s17, 0, s0
	v_add_co_u32 v88, s0, 0x5000, v118
	v_add_co_ci_u32_e64 v89, s0, 0, v119, s0
	v_add_co_u32 v116, s0, 0x5610, v118
	v_add_co_ci_u32_e64 v117, s0, 0, v119, s0
	;; [unrolled: 2-line block ×3, first 2 shown]
	v_add_co_u32 v114, s0, 0x6800, v118
	s_waitcnt lgkmcnt(17)
	v_fma_f64 v[54:55], v[52:53], -0.5, v[48:49]
	v_add_f64 v[52:53], v[204:205], v[208:209]
	v_add_f64 v[48:49], v[48:49], v[202:203]
	v_add_co_ci_u32_e64 v115, s0, 0, v119, s0
	v_fma_f64 v[84:85], v[52:53], -0.5, v[50:51]
	v_add_f64 v[50:51], v[50:51], v[204:205]
	v_add_f64 v[56:57], v[48:49], v[206:207]
	v_fma_f64 v[52:53], v[86:87], s[12:13], v[54:55]
	v_fma_f64 v[48:49], v[86:87], s[14:15], v[54:55]
	v_add_f64 v[58:59], v[50:51], v[208:209]
	v_add_f64 v[50:51], v[202:203], -v[206:207]
	v_fma_f64 v[54:55], v[50:51], s[14:15], v[84:85]
	v_fma_f64 v[50:51], v[50:51], s[12:13], v[84:85]
	v_add_f64 v[84:85], v[76:77], v[78:79]
	v_fma_f64 v[160:161], v[84:85], -0.5, v[156:157]
	v_add_f64 v[84:85], v[80:81], v[82:83]
	v_add_f64 v[156:157], v[156:157], v[76:77]
	v_fma_f64 v[162:163], v[84:85], -0.5, v[158:159]
	v_add_f64 v[84:85], v[158:159], v[80:81]
	v_add_f64 v[158:159], v[80:81], -v[82:83]
	v_add_f64 v[86:87], v[84:85], v[82:83]
	v_add_f64 v[84:85], v[156:157], v[78:79]
	v_add_f64 v[78:79], v[76:77], -v[78:79]
	v_fma_f64 v[80:81], v[158:159], s[12:13], v[160:161]
	v_fma_f64 v[76:77], v[158:159], s[14:15], v[160:161]
	;; [unrolled: 1-line block ×4, first 2 shown]
	ds_write_b128 v238, v[72:75] offset:4896
	ds_write_b128 v238, v[56:59] offset:5712
	;; [unrolled: 1-line block ×10, first 2 shown]
	s_waitcnt lgkmcnt(0)
	s_waitcnt_vscnt null, 0x0
	s_barrier
	buffer_gl0_inv
	global_load_dwordx4 v[90:93], v[88:89], off offset:1552
	ds_read_b128 v[94:97], v238
	ds_read_b128 v[98:101], v238 offset:1296
	ds_read_b128 v[102:105], v238 offset:2592
	;; [unrolled: 1-line block ×11, first 2 shown]
	s_waitcnt vmcnt(0) lgkmcnt(11)
	v_mul_f64 v[88:89], v[96:97], v[92:93]
	v_mul_f64 v[92:93], v[94:95], v[92:93]
	v_fma_f64 v[88:89], v[94:95], v[90:91], -v[88:89]
	v_fma_f64 v[90:91], v[96:97], v[90:91], v[92:93]
	global_load_dwordx4 v[94:97], v[116:117], off offset:1296
	s_waitcnt vmcnt(0) lgkmcnt(10)
	v_mul_f64 v[92:93], v[100:101], v[96:97]
	v_mul_f64 v[96:97], v[98:99], v[96:97]
	v_fma_f64 v[92:93], v[98:99], v[94:95], -v[92:93]
	v_fma_f64 v[94:95], v[100:101], v[94:95], v[96:97]
	global_load_dwordx4 v[98:101], v[106:107], off offset:48
	;; [unrolled: 6-line block ×3, first 2 shown]
	ds_read_b128 v[106:109], v238 offset:3888
	s_waitcnt vmcnt(0) lgkmcnt(0)
	v_mul_f64 v[100:101], v[108:109], v[104:105]
	v_mul_f64 v[104:105], v[106:107], v[104:105]
	v_fma_f64 v[100:101], v[106:107], v[102:103], -v[100:101]
	v_fma_f64 v[102:103], v[108:109], v[102:103], v[104:105]
	global_load_dwordx4 v[106:109], v[114:115], off offset:592
	s_waitcnt vmcnt(0)
	v_mul_f64 v[104:105], v[112:113], v[108:109]
	v_mul_f64 v[108:109], v[110:111], v[108:109]
	v_fma_f64 v[104:105], v[110:111], v[106:107], -v[104:105]
	v_fma_f64 v[106:107], v[112:113], v[106:107], v[108:109]
	global_load_dwordx4 v[110:113], v[114:115], off offset:1888
	s_waitcnt vmcnt(0)
	v_mul_f64 v[108:109], v[122:123], v[112:113]
	v_mul_f64 v[112:113], v[120:121], v[112:113]
	v_fma_f64 v[108:109], v[120:121], v[110:111], -v[108:109]
	v_fma_f64 v[110:111], v[122:123], v[110:111], v[112:113]
	v_add_co_u32 v112, s0, 0x7000, v118
	v_add_co_ci_u32_e64 v113, s0, 0, v119, s0
	v_add_co_u32 v128, s0, 0x7800, v118
	v_add_co_ci_u32_e64 v129, s0, 0, v119, s0
	global_load_dwordx4 v[120:123], v[112:113], off offset:1136
	ds_read_b128 v[112:115], v238 offset:7776
	s_waitcnt vmcnt(0) lgkmcnt(0)
	v_mul_f64 v[124:125], v[114:115], v[122:123]
	v_mul_f64 v[122:123], v[112:113], v[122:123]
	v_fma_f64 v[112:113], v[112:113], v[120:121], -v[124:125]
	v_fma_f64 v[114:115], v[114:115], v[120:121], v[122:123]
	global_load_dwordx4 v[120:123], v[128:129], off offset:384
	ds_read_b128 v[124:127], v238 offset:9072
	s_waitcnt vmcnt(0) lgkmcnt(0)
	v_mul_f64 v[130:131], v[126:127], v[122:123]
	v_mul_f64 v[132:133], v[124:125], v[122:123]
	v_fma_f64 v[122:123], v[124:125], v[120:121], -v[130:131]
	v_fma_f64 v[124:125], v[126:127], v[120:121], v[132:133]
	global_load_dwordx4 v[126:129], v[128:129], off offset:1680
	ds_read_b128 v[130:133], v238 offset:10368
	s_waitcnt vmcnt(0) lgkmcnt(0)
	v_mul_f64 v[120:121], v[132:133], v[128:129]
	v_mul_f64 v[134:135], v[130:131], v[128:129]
	v_fma_f64 v[128:129], v[130:131], v[126:127], -v[120:121]
	v_add_co_u32 v120, s0, 0x8000, v118
	v_add_co_ci_u32_e64 v121, s0, 0, v119, s0
	v_fma_f64 v[130:131], v[132:133], v[126:127], v[134:135]
	global_load_dwordx4 v[132:135], v[120:121], off offset:928
	s_waitcnt vmcnt(0)
	v_mul_f64 v[120:121], v[138:139], v[134:135]
	v_mul_f64 v[126:127], v[136:137], v[134:135]
	v_fma_f64 v[134:135], v[136:137], v[132:133], -v[120:121]
	v_add_co_u32 v120, s0, 0x8800, v118
	v_add_co_ci_u32_e64 v121, s0, 0, v119, s0
	v_fma_f64 v[136:137], v[138:139], v[132:133], v[126:127]
	global_load_dwordx4 v[138:141], v[120:121], off offset:176
	s_waitcnt vmcnt(0)
	v_mul_f64 v[126:127], v[144:145], v[140:141]
	v_mul_f64 v[132:133], v[142:143], v[140:141]
	v_fma_f64 v[140:141], v[142:143], v[138:139], -v[126:127]
	v_fma_f64 v[142:143], v[144:145], v[138:139], v[132:133]
	global_load_dwordx4 v[144:147], v[120:121], off offset:1472
	s_waitcnt vmcnt(0)
	v_mul_f64 v[120:121], v[150:151], v[146:147]
	v_mul_f64 v[126:127], v[148:149], v[146:147]
	v_fma_f64 v[146:147], v[148:149], v[144:145], -v[120:121]
	v_add_co_u32 v120, s0, 0x9000, v118
	v_add_co_ci_u32_e64 v121, s0, 0, v119, s0
	v_fma_f64 v[148:149], v[150:151], v[144:145], v[126:127]
	global_load_dwordx4 v[150:153], v[120:121], off offset:720
	s_waitcnt vmcnt(0)
	v_mul_f64 v[126:127], v[156:157], v[152:153]
	v_mul_f64 v[132:133], v[154:155], v[152:153]
	v_fma_f64 v[152:153], v[154:155], v[150:151], -v[126:127]
	v_fma_f64 v[154:155], v[156:157], v[150:151], v[132:133]
	global_load_dwordx4 v[156:159], v[120:121], off offset:2016
	s_waitcnt vmcnt(0)
	v_mul_f64 v[120:121], v[162:163], v[158:159]
	v_mul_f64 v[126:127], v[160:161], v[158:159]
	v_fma_f64 v[158:159], v[160:161], v[156:157], -v[120:121]
	v_add_co_u32 v120, s0, 0x9800, v118
	v_add_co_ci_u32_e64 v121, s0, 0, v119, s0
	v_fma_f64 v[160:161], v[162:163], v[156:157], v[126:127]
	global_load_dwordx4 v[162:165], v[120:121], off offset:1264
	s_waitcnt vmcnt(0)
	v_mul_f64 v[126:127], v[200:201], v[164:165]
	v_mul_f64 v[120:121], v[202:203], v[164:165]
	v_fma_f64 v[166:167], v[202:203], v[162:163], v[126:127]
	v_add_co_u32 v126, s0, 0xa000, v118
	v_add_co_ci_u32_e64 v127, s0, 0, v119, s0
	v_fma_f64 v[164:165], v[200:201], v[162:163], -v[120:121]
	ds_read_b128 v[200:203], v238 offset:19440
	global_load_dwordx4 v[118:121], v[126:127], off offset:512
	s_waitcnt vmcnt(0) lgkmcnt(0)
	v_mul_f64 v[132:133], v[202:203], v[120:121]
	v_mul_f64 v[120:121], v[200:201], v[120:121]
	v_fma_f64 v[200:201], v[200:201], v[118:119], -v[132:133]
	v_fma_f64 v[202:203], v[202:203], v[118:119], v[120:121]
	global_load_dwordx4 v[118:121], v[126:127], off offset:1808
	s_waitcnt vmcnt(0)
	v_mul_f64 v[126:127], v[206:207], v[120:121]
	v_mul_f64 v[120:121], v[204:205], v[120:121]
	v_fma_f64 v[204:205], v[204:205], v[118:119], -v[126:127]
	v_fma_f64 v[206:207], v[206:207], v[118:119], v[120:121]
	ds_write_b128 v238, v[88:91]
	ds_write_b128 v238, v[92:95] offset:1296
	ds_write_b128 v238, v[96:99] offset:2592
	;; [unrolled: 1-line block ×16, first 2 shown]
	s_and_saveexec_b32 s1, vcc_lo
	s_cbranch_execz .LBB0_9
; %bb.8:
	global_load_dwordx4 v[92:95], v[116:117], off offset:816
	ds_read_b128 v[88:91], v238 offset:816
	v_add_co_u32 v100, s0, 0x800, v116
	v_add_co_ci_u32_e64 v101, s0, 0, v117, s0
	s_waitcnt vmcnt(0) lgkmcnt(0)
	v_mul_f64 v[96:97], v[90:91], v[94:95]
	v_fma_f64 v[96:97], v[88:89], v[92:93], -v[96:97]
	v_mul_f64 v[88:89], v[88:89], v[94:95]
	v_fma_f64 v[98:99], v[90:91], v[92:93], v[88:89]
	global_load_dwordx4 v[92:95], v[100:101], off offset:64
	ds_read_b128 v[88:91], v238 offset:2112
	ds_write_b128 v238, v[96:99] offset:816
	s_waitcnt vmcnt(0) lgkmcnt(1)
	v_mul_f64 v[96:97], v[90:91], v[94:95]
	v_fma_f64 v[96:97], v[88:89], v[92:93], -v[96:97]
	v_mul_f64 v[88:89], v[88:89], v[94:95]
	v_fma_f64 v[98:99], v[90:91], v[92:93], v[88:89]
	global_load_dwordx4 v[92:95], v[100:101], off offset:1360
	ds_read_b128 v[88:91], v238 offset:3408
	v_add_co_u32 v100, s0, 0x1000, v116
	v_add_co_ci_u32_e64 v101, s0, 0, v117, s0
	ds_write_b128 v238, v[96:99] offset:2112
	s_waitcnt vmcnt(0) lgkmcnt(1)
	v_mul_f64 v[96:97], v[90:91], v[94:95]
	v_fma_f64 v[96:97], v[88:89], v[92:93], -v[96:97]
	v_mul_f64 v[88:89], v[88:89], v[94:95]
	v_fma_f64 v[98:99], v[90:91], v[92:93], v[88:89]
	global_load_dwordx4 v[92:95], v[100:101], off offset:608
	ds_read_b128 v[88:91], v238 offset:4704
	ds_write_b128 v238, v[96:99] offset:3408
	s_waitcnt vmcnt(0) lgkmcnt(1)
	v_mul_f64 v[96:97], v[90:91], v[94:95]
	v_fma_f64 v[96:97], v[88:89], v[92:93], -v[96:97]
	v_mul_f64 v[88:89], v[88:89], v[94:95]
	v_fma_f64 v[98:99], v[90:91], v[92:93], v[88:89]
	global_load_dwordx4 v[92:95], v[100:101], off offset:1904
	ds_read_b128 v[88:91], v238 offset:6000
	ds_write_b128 v238, v[96:99] offset:4704
	s_waitcnt vmcnt(0) lgkmcnt(1)
	v_mul_f64 v[96:97], v[90:91], v[94:95]
	v_fma_f64 v[96:97], v[88:89], v[92:93], -v[96:97]
	v_mul_f64 v[88:89], v[88:89], v[94:95]
	v_fma_f64 v[98:99], v[90:91], v[92:93], v[88:89]
	v_add_co_u32 v92, s0, 0x1800, v116
	v_add_co_ci_u32_e64 v93, s0, 0, v117, s0
	ds_read_b128 v[88:91], v238 offset:7296
	v_add_co_u32 v100, s0, 0x2000, v116
	global_load_dwordx4 v[92:95], v[92:93], off offset:1152
	v_add_co_ci_u32_e64 v101, s0, 0, v117, s0
	ds_write_b128 v238, v[96:99] offset:6000
	s_waitcnt vmcnt(0) lgkmcnt(1)
	v_mul_f64 v[96:97], v[90:91], v[94:95]
	v_fma_f64 v[96:97], v[88:89], v[92:93], -v[96:97]
	v_mul_f64 v[88:89], v[88:89], v[94:95]
	v_fma_f64 v[98:99], v[90:91], v[92:93], v[88:89]
	global_load_dwordx4 v[92:95], v[100:101], off offset:400
	ds_read_b128 v[88:91], v238 offset:8592
	ds_write_b128 v238, v[96:99] offset:7296
	s_waitcnt vmcnt(0) lgkmcnt(1)
	v_mul_f64 v[96:97], v[90:91], v[94:95]
	v_fma_f64 v[96:97], v[88:89], v[92:93], -v[96:97]
	v_mul_f64 v[88:89], v[88:89], v[94:95]
	v_fma_f64 v[98:99], v[90:91], v[92:93], v[88:89]
	global_load_dwordx4 v[92:95], v[100:101], off offset:1696
	ds_read_b128 v[88:91], v238 offset:9888
	ds_write_b128 v238, v[96:99] offset:8592
	s_waitcnt vmcnt(0) lgkmcnt(1)
	v_mul_f64 v[96:97], v[90:91], v[94:95]
	v_fma_f64 v[96:97], v[88:89], v[92:93], -v[96:97]
	v_mul_f64 v[88:89], v[88:89], v[94:95]
	v_fma_f64 v[98:99], v[90:91], v[92:93], v[88:89]
	v_add_co_u32 v92, s0, 0x2800, v116
	v_add_co_ci_u32_e64 v93, s0, 0, v117, s0
	ds_read_b128 v[88:91], v238 offset:11184
	v_add_co_u32 v100, s0, 0x3000, v116
	global_load_dwordx4 v[92:95], v[92:93], off offset:944
	v_add_co_ci_u32_e64 v101, s0, 0, v117, s0
	ds_write_b128 v238, v[96:99] offset:9888
	s_waitcnt vmcnt(0) lgkmcnt(1)
	v_mul_f64 v[96:97], v[90:91], v[94:95]
	v_fma_f64 v[96:97], v[88:89], v[92:93], -v[96:97]
	v_mul_f64 v[88:89], v[88:89], v[94:95]
	v_fma_f64 v[98:99], v[90:91], v[92:93], v[88:89]
	global_load_dwordx4 v[92:95], v[100:101], off offset:192
	ds_read_b128 v[88:91], v238 offset:12480
	ds_write_b128 v238, v[96:99] offset:11184
	s_waitcnt vmcnt(0) lgkmcnt(1)
	v_mul_f64 v[96:97], v[90:91], v[94:95]
	v_fma_f64 v[96:97], v[88:89], v[92:93], -v[96:97]
	v_mul_f64 v[88:89], v[88:89], v[94:95]
	v_fma_f64 v[98:99], v[90:91], v[92:93], v[88:89]
	global_load_dwordx4 v[92:95], v[100:101], off offset:1488
	ds_read_b128 v[88:91], v238 offset:13776
	v_add_co_u32 v100, s0, 0x3800, v116
	v_add_co_ci_u32_e64 v101, s0, 0, v117, s0
	ds_write_b128 v238, v[96:99] offset:12480
	s_waitcnt vmcnt(0) lgkmcnt(1)
	v_mul_f64 v[96:97], v[90:91], v[94:95]
	v_fma_f64 v[96:97], v[88:89], v[92:93], -v[96:97]
	v_mul_f64 v[88:89], v[88:89], v[94:95]
	v_fma_f64 v[98:99], v[90:91], v[92:93], v[88:89]
	global_load_dwordx4 v[92:95], v[100:101], off offset:736
	ds_read_b128 v[88:91], v238 offset:15072
	ds_write_b128 v238, v[96:99] offset:13776
	s_waitcnt vmcnt(0) lgkmcnt(1)
	v_mul_f64 v[96:97], v[90:91], v[94:95]
	v_fma_f64 v[96:97], v[88:89], v[92:93], -v[96:97]
	v_mul_f64 v[88:89], v[88:89], v[94:95]
	v_fma_f64 v[98:99], v[90:91], v[92:93], v[88:89]
	global_load_dwordx4 v[92:95], v[100:101], off offset:2032
	ds_read_b128 v[88:91], v238 offset:16368
	ds_write_b128 v238, v[96:99] offset:15072
	s_waitcnt vmcnt(0) lgkmcnt(1)
	v_mul_f64 v[96:97], v[90:91], v[94:95]
	v_fma_f64 v[96:97], v[88:89], v[92:93], -v[96:97]
	v_mul_f64 v[88:89], v[88:89], v[94:95]
	v_fma_f64 v[98:99], v[90:91], v[92:93], v[88:89]
	v_add_co_u32 v92, s0, 0x4000, v116
	v_add_co_ci_u32_e64 v93, s0, 0, v117, s0
	ds_read_b128 v[88:91], v238 offset:17664
	v_add_co_u32 v100, s0, 0x4800, v116
	global_load_dwordx4 v[92:95], v[92:93], off offset:1280
	v_add_co_ci_u32_e64 v101, s0, 0, v117, s0
	ds_write_b128 v238, v[96:99] offset:16368
	s_waitcnt vmcnt(0) lgkmcnt(1)
	v_mul_f64 v[96:97], v[90:91], v[94:95]
	v_fma_f64 v[96:97], v[88:89], v[92:93], -v[96:97]
	v_mul_f64 v[88:89], v[88:89], v[94:95]
	v_fma_f64 v[98:99], v[90:91], v[92:93], v[88:89]
	global_load_dwordx4 v[92:95], v[100:101], off offset:528
	ds_read_b128 v[88:91], v238 offset:18960
	ds_write_b128 v238, v[96:99] offset:17664
	s_waitcnt vmcnt(0) lgkmcnt(1)
	v_mul_f64 v[96:97], v[90:91], v[94:95]
	v_fma_f64 v[96:97], v[88:89], v[92:93], -v[96:97]
	v_mul_f64 v[88:89], v[88:89], v[94:95]
	v_fma_f64 v[98:99], v[90:91], v[92:93], v[88:89]
	global_load_dwordx4 v[92:95], v[100:101], off offset:1824
	ds_read_b128 v[88:91], v238 offset:20256
	ds_write_b128 v238, v[96:99] offset:18960
	s_waitcnt vmcnt(0) lgkmcnt(1)
	v_mul_f64 v[96:97], v[90:91], v[94:95]
	v_fma_f64 v[96:97], v[88:89], v[92:93], -v[96:97]
	v_mul_f64 v[88:89], v[88:89], v[94:95]
	v_fma_f64 v[98:99], v[90:91], v[92:93], v[88:89]
	v_add_co_u32 v92, s0, 0x5000, v116
	v_add_co_ci_u32_e64 v93, s0, 0, v117, s0
	ds_read_b128 v[88:91], v238 offset:21552
	global_load_dwordx4 v[92:95], v[92:93], off offset:1072
	ds_write_b128 v238, v[96:99] offset:20256
	s_waitcnt vmcnt(0) lgkmcnt(1)
	v_mul_f64 v[96:97], v[90:91], v[94:95]
	v_fma_f64 v[96:97], v[88:89], v[92:93], -v[96:97]
	v_mul_f64 v[88:89], v[88:89], v[94:95]
	v_fma_f64 v[98:99], v[90:91], v[92:93], v[88:89]
	ds_write_b128 v238, v[96:99] offset:21552
.LBB0_9:
	s_or_b32 exec_lo, exec_lo, s1
	s_waitcnt lgkmcnt(0)
	s_barrier
	buffer_gl0_inv
	ds_read_b128 v[144:147], v238
	ds_read_b128 v[148:151], v238 offset:1296
	ds_read_b128 v[136:139], v238 offset:2592
	;; [unrolled: 1-line block ×16, first 2 shown]
	s_and_saveexec_b32 s0, vcc_lo
	s_cbranch_execz .LBB0_11
; %bb.10:
	ds_read_b128 v[68:71], v238 offset:816
	ds_read_b128 v[72:75], v238 offset:2112
	;; [unrolled: 1-line block ×11, first 2 shown]
	s_waitcnt lgkmcnt(0)
	buffer_store_dword v0, off, s[60:63], 0 offset:324 ; 4-byte Folded Spill
	buffer_store_dword v1, off, s[60:63], 0 offset:328 ; 4-byte Folded Spill
	buffer_store_dword v2, off, s[60:63], 0 offset:332 ; 4-byte Folded Spill
	buffer_store_dword v3, off, s[60:63], 0 offset:336 ; 4-byte Folded Spill
	ds_read_b128 v[0:3], v238 offset:15072
	s_waitcnt lgkmcnt(0)
	buffer_store_dword v0, off, s[60:63], 0 offset:308 ; 4-byte Folded Spill
	buffer_store_dword v1, off, s[60:63], 0 offset:312 ; 4-byte Folded Spill
	buffer_store_dword v2, off, s[60:63], 0 offset:316 ; 4-byte Folded Spill
	buffer_store_dword v3, off, s[60:63], 0 offset:320 ; 4-byte Folded Spill
	ds_read_b128 v[0:3], v238 offset:16368
	;; [unrolled: 6-line block ×6, first 2 shown]
	s_waitcnt lgkmcnt(0)
	buffer_store_dword v0, off, s[60:63], 0 offset:228 ; 4-byte Folded Spill
	buffer_store_dword v1, off, s[60:63], 0 offset:232 ; 4-byte Folded Spill
	buffer_store_dword v2, off, s[60:63], 0 offset:236 ; 4-byte Folded Spill
	buffer_store_dword v3, off, s[60:63], 0 offset:240 ; 4-byte Folded Spill
.LBB0_11:
	s_or_b32 exec_lo, exec_lo, s0
	s_waitcnt lgkmcnt(15)
	v_add_f64 v[158:159], v[146:147], v[150:151]
	v_add_f64 v[156:157], v[144:145], v[148:149]
	s_mov_b32 s2, 0x5d8e7cdc
	s_mov_b32 s12, 0x2a9d6da3
	;; [unrolled: 1-line block ×20, first 2 shown]
	s_waitcnt lgkmcnt(14)
	v_add_f64 v[158:159], v[158:159], v[138:139]
	v_add_f64 v[156:157], v[156:157], v[136:137]
	s_mov_b32 s24, 0xc61f0d01
	s_mov_b32 s30, 0x6ed5f1bb
	;; [unrolled: 1-line block ×20, first 2 shown]
	s_waitcnt lgkmcnt(13)
	v_add_f64 v[158:159], v[158:159], v[130:131]
	v_add_f64 v[156:157], v[156:157], v[128:129]
	s_mov_b32 s40, s28
	s_mov_b32 s53, 0x3fe9895b
	;; [unrolled: 1-line block ×7, first 2 shown]
	s_waitcnt lgkmcnt(2)
	v_add_f64 v[14:15], v[130:131], -v[134:135]
	v_add_f64 v[12:13], v[128:129], -v[132:133]
	s_waitcnt lgkmcnt(0)
	s_waitcnt_vscnt null, 0x0
	s_barrier
	buffer_gl0_inv
	v_add_f64 v[158:159], v[158:159], v[122:123]
	v_add_f64 v[156:157], v[156:157], v[120:121]
	;; [unrolled: 1-line block ×26, first 2 shown]
	v_add_f64 v[150:151], v[150:151], -v[154:155]
	v_add_f64 v[20:21], v[156:157], v[152:153]
	v_add_f64 v[156:157], v[148:149], v[152:153]
	v_add_f64 v[148:149], v[148:149], -v[152:153]
	v_mul_f64 v[160:161], v[158:159], s[0:1]
	v_mul_f64 v[152:153], v[150:151], s[2:3]
	;; [unrolled: 1-line block ×16, first 2 shown]
	v_fma_f64 v[162:163], v[148:149], s[18:19], v[160:161]
	v_fma_f64 v[154:155], v[156:157], s[0:1], v[152:153]
	v_fma_f64 v[152:153], v[156:157], s[0:1], -v[152:153]
	v_fma_f64 v[166:167], v[156:157], s[4:5], v[164:165]
	v_fma_f64 v[164:165], v[156:157], s[4:5], -v[164:165]
	v_fma_f64 v[206:207], v[156:157], s[14:15], v[204:205]
	v_fma_f64 v[204:205], v[156:157], s[14:15], -v[204:205]
	v_fma_f64 v[214:215], v[156:157], s[20:21], v[212:213]
	v_fma_f64 v[212:213], v[156:157], s[20:21], -v[212:213]
	v_fma_f64 v[222:223], v[156:157], s[24:25], v[220:221]
	v_fma_f64 v[220:221], v[156:157], s[24:25], -v[220:221]
	v_fma_f64 v[230:231], v[156:157], s[30:31], v[228:229]
	v_fma_f64 v[228:229], v[156:157], s[30:31], -v[228:229]
	v_fma_f64 v[242:243], v[156:157], s[36:37], v[240:241]
	v_fma_f64 v[240:241], v[156:157], s[36:37], -v[240:241]
	v_fma_f64 v[248:249], v[156:157], s[44:45], v[150:151]
	v_fma_f64 v[150:151], v[156:157], s[44:45], -v[150:151]
	v_fma_f64 v[160:161], v[148:149], s[2:3], v[160:161]
	v_fma_f64 v[202:203], v[148:149], s[38:39], v[200:201]
	v_fma_f64 v[200:201], v[148:149], s[12:13], v[200:201]
	v_fma_f64 v[210:211], v[148:149], s[26:27], v[208:209]
	v_fma_f64 v[208:209], v[148:149], s[16:17], v[208:209]
	v_fma_f64 v[218:219], v[148:149], s[54:55], v[216:217]
	v_add_f64 v[154:155], v[144:145], v[154:155]
	v_add_f64 v[152:153], v[144:145], v[152:153]
	;; [unrolled: 1-line block ×8, first 2 shown]
	v_fma_f64 v[216:217], v[148:149], s[22:23], v[216:217]
	v_add_f64 v[222:223], v[144:145], v[222:223]
	v_fma_f64 v[226:227], v[148:149], s[40:41], v[224:225]
	v_add_f64 v[220:221], v[144:145], v[220:221]
	;; [unrolled: 2-line block ×9, first 2 shown]
	v_add_f64 v[138:139], v[138:139], -v[142:143]
	v_add_f64 v[162:163], v[146:147], v[162:163]
	v_add_f64 v[160:161], v[146:147], v[160:161]
	;; [unrolled: 1-line block ×17, first 2 shown]
	v_add_f64 v[136:137], v[136:137], -v[140:141]
	v_mul_f64 v[140:141], v[138:139], s[12:13]
	v_mul_f64 v[6:7], v[138:139], s[40:41]
	;; [unrolled: 1-line block ×3, first 2 shown]
	v_fma_f64 v[142:143], v[148:149], s[4:5], v[140:141]
	v_fma_f64 v[140:141], v[148:149], s[4:5], -v[140:141]
	v_add_f64 v[142:143], v[142:143], v[154:155]
	v_mul_f64 v[154:155], v[150:151], s[4:5]
	v_add_f64 v[140:141], v[140:141], v[152:153]
	v_fma_f64 v[152:153], v[136:137], s[12:13], v[154:155]
	v_fma_f64 v[156:157], v[136:137], s[38:39], v[154:155]
	v_mul_f64 v[154:155], v[138:139], s[22:23]
	v_add_f64 v[152:153], v[152:153], v[160:161]
	v_mul_f64 v[160:161], v[150:151], s[20:21]
	v_add_f64 v[156:157], v[156:157], v[162:163]
	v_fma_f64 v[158:159], v[148:149], s[20:21], v[154:155]
	v_fma_f64 v[154:155], v[148:149], s[20:21], -v[154:155]
	v_fma_f64 v[162:163], v[136:137], s[54:55], v[160:161]
	v_fma_f64 v[160:161], v[136:137], s[22:23], v[160:161]
	v_add_f64 v[158:159], v[158:159], v[166:167]
	v_add_f64 v[154:155], v[154:155], v[164:165]
	v_mul_f64 v[164:165], v[138:139], s[34:35]
	v_add_f64 v[162:163], v[162:163], v[202:203]
	v_add_f64 v[160:161], v[160:161], v[200:201]
	v_mul_f64 v[200:201], v[150:151], s[30:31]
	v_fma_f64 v[166:167], v[148:149], s[30:31], v[164:165]
	v_fma_f64 v[164:165], v[148:149], s[30:31], -v[164:165]
	v_fma_f64 v[202:203], v[136:137], s[52:53], v[200:201]
	v_fma_f64 v[200:201], v[136:137], s[34:35], v[200:201]
	v_add_f64 v[166:167], v[166:167], v[206:207]
	v_add_f64 v[164:165], v[164:165], v[204:205]
	v_mul_f64 v[204:205], v[138:139], s[46:47]
	v_add_f64 v[202:203], v[202:203], v[210:211]
	v_add_f64 v[200:201], v[200:201], v[208:209]
	v_mul_f64 v[208:209], v[150:151], s[44:45]
	v_fma_f64 v[206:207], v[148:149], s[44:45], v[204:205]
	v_fma_f64 v[204:205], v[148:149], s[44:45], -v[204:205]
	v_fma_f64 v[210:211], v[136:137], s[50:51], v[208:209]
	v_fma_f64 v[208:209], v[136:137], s[46:47], v[208:209]
	v_add_f64 v[206:207], v[206:207], v[214:215]
	v_add_f64 v[204:205], v[204:205], v[212:213]
	;; [unrolled: 1-line block ×3, first 2 shown]
	v_mul_f64 v[210:211], v[138:139], s[48:49]
	v_add_f64 v[208:209], v[208:209], v[216:217]
	v_fma_f64 v[212:213], v[148:149], s[36:37], v[210:211]
	v_fma_f64 v[2:3], v[148:149], s[36:37], -v[210:211]
	v_add_f64 v[254:255], v[212:213], v[222:223]
	v_mul_f64 v[212:213], v[150:151], s[36:37]
	v_add_f64 v[2:3], v[2:3], v[220:221]
	v_fma_f64 v[210:211], v[136:137], s[48:49], v[212:213]
	v_fma_f64 v[214:215], v[136:137], s[42:43], v[212:213]
	v_add_f64 v[4:5], v[210:211], v[224:225]
	v_fma_f64 v[210:211], v[148:149], s[24:25], v[6:7]
	v_add_f64 v[0:1], v[214:215], v[226:227]
	v_fma_f64 v[6:7], v[148:149], s[24:25], -v[6:7]
	v_add_f64 v[8:9], v[210:211], v[230:231]
	v_fma_f64 v[210:211], v[136:137], s[28:29], v[10:11]
	v_fma_f64 v[10:11], v[136:137], s[40:41], v[10:11]
	v_add_f64 v[6:7], v[6:7], v[228:229]
	v_add_f64 v[234:235], v[210:211], v[234:235]
	v_mul_f64 v[210:211], v[138:139], s[26:27]
	v_add_f64 v[10:11], v[10:11], v[232:233]
	v_mul_f64 v[138:139], v[138:139], s[18:19]
	v_fma_f64 v[212:213], v[148:149], s[14:15], v[210:211]
	v_fma_f64 v[210:211], v[148:149], s[14:15], -v[210:211]
	v_add_f64 v[232:233], v[212:213], v[242:243]
	v_mul_f64 v[212:213], v[150:151], s[14:15]
	v_add_f64 v[240:241], v[210:211], v[240:241]
	v_mul_f64 v[150:151], v[150:151], s[0:1]
	v_fma_f64 v[210:211], v[136:137], s[26:27], v[212:213]
	v_fma_f64 v[214:215], v[136:137], s[16:17], v[212:213]
	v_add_f64 v[244:245], v[210:211], v[244:245]
	v_fma_f64 v[210:211], v[148:149], s[0:1], v[138:139]
	v_add_f64 v[242:243], v[214:215], v[246:247]
	v_fma_f64 v[138:139], v[148:149], s[0:1], -v[138:139]
	v_add_f64 v[246:247], v[210:211], v[248:249]
	v_fma_f64 v[210:211], v[136:137], s[2:3], v[150:151]
	v_fma_f64 v[136:137], v[136:137], s[18:19], v[150:151]
	v_add_f64 v[148:149], v[138:139], v[144:145]
	v_add_f64 v[144:145], v[130:131], v[134:135]
	;; [unrolled: 1-line block ×5, first 2 shown]
	v_mul_f64 v[128:129], v[14:15], s[16:17]
	v_mul_f64 v[18:19], v[144:145], s[14:15]
	v_fma_f64 v[130:131], v[146:147], s[14:15], v[128:129]
	v_fma_f64 v[128:129], v[146:147], s[14:15], -v[128:129]
	v_add_f64 v[16:17], v[130:131], v[142:143]
	v_fma_f64 v[130:131], v[12:13], s[26:27], v[18:19]
	v_fma_f64 v[18:19], v[12:13], s[16:17], v[18:19]
	v_add_f64 v[212:213], v[128:129], v[140:141]
	v_add_f64 v[210:211], v[130:131], v[156:157]
	;; [unrolled: 1-line block ×3, first 2 shown]
	v_mul_f64 v[18:19], v[14:15], s[34:35]
	v_add_f64 v[156:157], v[120:121], v[124:125]
	v_fma_f64 v[128:129], v[146:147], s[30:31], v[18:19]
	v_fma_f64 v[18:19], v[146:147], s[30:31], -v[18:19]
	v_add_f64 v[230:231], v[128:129], v[158:159]
	v_mul_f64 v[128:129], v[144:145], s[30:31]
	v_add_f64 v[226:227], v[18:19], v[154:155]
	v_fma_f64 v[18:19], v[12:13], s[34:35], v[128:129]
	v_fma_f64 v[130:131], v[12:13], s[52:53], v[128:129]
	v_add_f64 v[228:229], v[18:19], v[160:161]
	v_mul_f64 v[18:19], v[14:15], s[50:51]
	v_add_f64 v[224:225], v[130:131], v[162:163]
	v_fma_f64 v[128:129], v[146:147], s[44:45], v[18:19]
	v_fma_f64 v[18:19], v[146:147], s[44:45], -v[18:19]
	v_add_f64 v[216:217], v[128:129], v[166:167]
	v_mul_f64 v[128:129], v[144:145], s[44:45]
	v_add_f64 v[220:221], v[18:19], v[164:165]
	v_fma_f64 v[18:19], v[12:13], s[50:51], v[128:129]
	v_fma_f64 v[130:131], v[12:13], s[46:47], v[128:129]
	v_add_f64 v[222:223], v[18:19], v[200:201]
	v_mul_f64 v[18:19], v[14:15], s[40:41]
	v_add_f64 v[218:219], v[130:131], v[202:203]
	v_add_f64 v[202:203], v[120:121], -v[124:125]
	v_fma_f64 v[128:129], v[146:147], s[24:25], v[18:19]
	v_fma_f64 v[18:19], v[146:147], s[24:25], -v[18:19]
	v_add_f64 v[200:201], v[128:129], v[206:207]
	v_mul_f64 v[128:129], v[144:145], s[24:25]
	v_add_f64 v[164:165], v[18:19], v[204:205]
	v_add_f64 v[206:207], v[122:123], -v[126:127]
	v_add_f64 v[204:205], v[122:123], v[126:127]
	v_fma_f64 v[18:19], v[12:13], s[40:41], v[128:129]
	v_fma_f64 v[130:131], v[12:13], s[28:29], v[128:129]
	v_add_f64 v[166:167], v[18:19], v[208:209]
	v_mul_f64 v[18:19], v[14:15], s[38:39]
	v_add_f64 v[162:163], v[130:131], v[252:253]
	v_fma_f64 v[128:129], v[146:147], s[4:5], v[18:19]
	v_add_f64 v[160:161], v[128:129], v[254:255]
	v_mul_f64 v[128:129], v[144:145], s[4:5]
	v_fma_f64 v[130:131], v[12:13], s[12:13], v[128:129]
	v_add_f64 v[152:153], v[130:131], v[0:1]
	v_fma_f64 v[0:1], v[146:147], s[4:5], -v[18:19]
	v_add_f64 v[154:155], v[0:1], v[2:3]
	v_fma_f64 v[0:1], v[12:13], s[38:39], v[128:129]
	v_add_f64 v[158:159], v[0:1], v[4:5]
	v_mul_f64 v[0:1], v[14:15], s[2:3]
	v_fma_f64 v[2:3], v[146:147], s[0:1], v[0:1]
	v_fma_f64 v[0:1], v[146:147], s[0:1], -v[0:1]
	v_add_f64 v[150:151], v[2:3], v[8:9]
	v_mul_f64 v[2:3], v[144:145], s[0:1]
	v_add_f64 v[130:131], v[0:1], v[6:7]
	v_mul_f64 v[8:9], v[206:207], s[16:17]
	v_fma_f64 v[0:1], v[12:13], s[2:3], v[2:3]
	v_fma_f64 v[4:5], v[12:13], s[18:19], v[2:3]
	v_add_f64 v[132:133], v[0:1], v[10:11]
	v_mul_f64 v[0:1], v[14:15], s[22:23]
	v_add_f64 v[128:129], v[4:5], v[234:235]
	v_fma_f64 v[10:11], v[156:157], s[14:15], v[8:9]
	v_fma_f64 v[8:9], v[156:157], s[14:15], -v[8:9]
	v_fma_f64 v[2:3], v[146:147], s[20:21], v[0:1]
	v_fma_f64 v[0:1], v[146:147], s[20:21], -v[0:1]
	v_add_f64 v[10:11], v[10:11], v[160:161]
	v_add_f64 v[8:9], v[8:9], v[154:155]
	;; [unrolled: 1-line block ×3, first 2 shown]
	v_add_f64 v[112:113], v[112:113], -v[116:117]
	v_add_f64 v[134:135], v[2:3], v[232:233]
	v_mul_f64 v[2:3], v[144:145], s[20:21]
	v_add_f64 v[138:139], v[0:1], v[240:241]
	v_fma_f64 v[0:1], v[12:13], s[22:23], v[2:3]
	v_fma_f64 v[4:5], v[12:13], s[54:55], v[2:3]
	v_add_f64 v[140:141], v[0:1], v[244:245]
	v_mul_f64 v[0:1], v[14:15], s[42:43]
	v_add_f64 v[136:137], v[4:5], v[242:243]
	v_fma_f64 v[2:3], v[146:147], s[36:37], v[0:1]
	v_fma_f64 v[0:1], v[146:147], s[36:37], -v[0:1]
	v_add_f64 v[142:143], v[2:3], v[246:247]
	v_mul_f64 v[2:3], v[144:145], s[36:37]
	v_add_f64 v[146:147], v[0:1], v[148:149]
	v_fma_f64 v[0:1], v[12:13], s[42:43], v[2:3]
	v_fma_f64 v[4:5], v[12:13], s[48:49], v[2:3]
	v_mul_f64 v[12:13], v[204:205], s[14:15]
	v_add_f64 v[148:149], v[0:1], v[250:251]
	v_mul_f64 v[0:1], v[206:207], s[22:23]
	v_add_f64 v[144:145], v[4:5], v[248:249]
	v_fma_f64 v[14:15], v[202:203], s[26:27], v[12:13]
	v_fma_f64 v[12:13], v[202:203], s[16:17], v[12:13]
	;; [unrolled: 1-line block ×3, first 2 shown]
	v_fma_f64 v[0:1], v[156:157], s[20:21], -v[0:1]
	v_add_f64 v[14:15], v[14:15], v[152:153]
	v_add_f64 v[12:13], v[12:13], v[158:159]
	;; [unrolled: 1-line block ×3, first 2 shown]
	v_mul_f64 v[2:3], v[204:205], s[20:21]
	v_add_f64 v[212:213], v[0:1], v[212:213]
	v_mul_f64 v[16:17], v[206:207], s[42:43]
	v_fma_f64 v[0:1], v[202:203], s[22:23], v[2:3]
	v_fma_f64 v[4:5], v[202:203], s[54:55], v[2:3]
	v_fma_f64 v[18:19], v[156:157], s[36:37], v[16:17]
	v_fma_f64 v[16:17], v[156:157], s[36:37], -v[16:17]
	v_add_f64 v[214:215], v[0:1], v[214:215]
	v_mul_f64 v[0:1], v[206:207], s[46:47]
	v_add_f64 v[18:19], v[18:19], v[150:151]
	v_mul_f64 v[150:151], v[204:205], s[36:37]
	v_add_f64 v[210:211], v[4:5], v[210:211]
	v_add_f64 v[16:17], v[16:17], v[130:131]
	v_fma_f64 v[2:3], v[156:157], s[44:45], v[0:1]
	v_fma_f64 v[0:1], v[156:157], s[44:45], -v[0:1]
	v_fma_f64 v[152:153], v[202:203], s[48:49], v[150:151]
	v_add_f64 v[120:121], v[2:3], v[230:231]
	v_mul_f64 v[2:3], v[204:205], s[44:45]
	v_add_f64 v[124:125], v[0:1], v[226:227]
	v_add_f64 v[152:153], v[152:153], v[128:129]
	v_fma_f64 v[128:129], v[202:203], s[42:43], v[150:151]
	v_fma_f64 v[0:1], v[202:203], s[46:47], v[2:3]
	;; [unrolled: 1-line block ×3, first 2 shown]
	v_add_f64 v[150:151], v[128:129], v[132:133]
	v_mul_f64 v[128:129], v[206:207], s[52:53]
	v_add_f64 v[126:127], v[0:1], v[228:229]
	v_mul_f64 v[0:1], v[206:207], s[40:41]
	v_add_f64 v[122:123], v[4:5], v[224:225]
	v_fma_f64 v[130:131], v[156:157], s[30:31], v[128:129]
	v_fma_f64 v[128:129], v[156:157], s[30:31], -v[128:129]
	v_fma_f64 v[2:3], v[156:157], s[24:25], v[0:1]
	v_fma_f64 v[0:1], v[156:157], s[24:25], -v[0:1]
	v_add_f64 v[134:135], v[130:131], v[134:135]
	v_mul_f64 v[130:131], v[204:205], s[30:31]
	v_add_f64 v[138:139], v[128:129], v[138:139]
	v_add_f64 v[216:217], v[2:3], v[216:217]
	v_mul_f64 v[2:3], v[204:205], s[24:25]
	v_add_f64 v[220:221], v[0:1], v[220:221]
	v_fma_f64 v[128:129], v[202:203], s[52:53], v[130:131]
	v_fma_f64 v[132:133], v[202:203], s[34:35], v[130:131]
	;; [unrolled: 1-line block ×4, first 2 shown]
	v_add_f64 v[140:141], v[128:129], v[140:141]
	v_mul_f64 v[128:129], v[206:207], s[38:39]
	v_add_f64 v[136:137], v[132:133], v[136:137]
	v_add_f64 v[222:223], v[0:1], v[222:223]
	v_mul_f64 v[0:1], v[206:207], s[18:19]
	v_add_f64 v[218:219], v[4:5], v[218:219]
	v_mul_f64 v[4:5], v[204:205], s[0:1]
	v_fma_f64 v[130:131], v[156:157], s[4:5], v[128:129]
	v_fma_f64 v[128:129], v[156:157], s[4:5], -v[128:129]
	v_add_f64 v[206:207], v[104:105], v[108:109]
	v_fma_f64 v[2:3], v[156:157], s[0:1], v[0:1]
	v_fma_f64 v[0:1], v[156:157], s[0:1], -v[0:1]
	v_add_f64 v[156:157], v[114:115], v[118:119]
	v_add_f64 v[114:115], v[114:115], -v[118:119]
	v_add_f64 v[142:143], v[130:131], v[142:143]
	v_mul_f64 v[130:131], v[204:205], s[4:5]
	v_add_f64 v[146:147], v[128:129], v[146:147]
	v_fma_f64 v[6:7], v[202:203], s[2:3], v[4:5]
	v_fma_f64 v[4:5], v[202:203], s[18:19], v[4:5]
	v_add_f64 v[2:3], v[2:3], v[200:201]
	v_add_f64 v[0:1], v[0:1], v[164:165]
	v_mul_f64 v[116:117], v[114:115], s[28:29]
	v_fma_f64 v[128:129], v[202:203], s[38:39], v[130:131]
	v_fma_f64 v[132:133], v[202:203], s[12:13], v[130:131]
	v_add_f64 v[6:7], v[6:7], v[162:163]
	v_add_f64 v[4:5], v[4:5], v[166:167]
	v_fma_f64 v[118:119], v[154:155], s[24:25], v[116:117]
	v_fma_f64 v[116:117], v[154:155], s[24:25], -v[116:117]
	v_add_f64 v[148:149], v[128:129], v[148:149]
	v_add_f64 v[144:145], v[132:133], v[144:145]
	;; [unrolled: 1-line block ×3, first 2 shown]
	v_mul_f64 v[118:119], v[156:157], s[24:25]
	v_add_f64 v[208:209], v[106:107], v[110:111]
	v_add_f64 v[116:117], v[116:117], v[212:213]
	v_fma_f64 v[128:129], v[112:113], s[40:41], v[118:119]
	v_fma_f64 v[118:119], v[112:113], s[28:29], v[118:119]
	v_add_f64 v[160:161], v[128:129], v[210:211]
	v_add_f64 v[162:163], v[118:119], v[214:215]
	v_mul_f64 v[118:119], v[114:115], s[48:49]
	v_add_f64 v[210:211], v[104:105], -v[108:109]
	v_fma_f64 v[128:129], v[154:155], s[36:37], v[118:119]
	v_fma_f64 v[118:119], v[154:155], s[36:37], -v[118:119]
	v_add_f64 v[164:165], v[128:129], v[120:121]
	v_mul_f64 v[120:121], v[156:157], s[36:37]
	v_add_f64 v[200:201], v[118:119], v[124:125]
	v_mul_f64 v[124:125], v[156:157], s[4:5]
	v_fma_f64 v[118:119], v[112:113], s[48:49], v[120:121]
	v_fma_f64 v[128:129], v[112:113], s[42:43], v[120:121]
	;; [unrolled: 1-line block ×4, first 2 shown]
	v_add_f64 v[202:203], v[118:119], v[126:127]
	v_mul_f64 v[126:127], v[114:115], s[16:17]
	v_add_f64 v[166:167], v[128:129], v[122:123]
	v_mul_f64 v[122:123], v[114:115], s[38:39]
	v_add_f64 v[124:125], v[124:125], v[222:223]
	v_add_f64 v[120:121], v[120:121], v[218:219]
	v_fma_f64 v[128:129], v[154:155], s[14:15], v[126:127]
	v_fma_f64 v[126:127], v[154:155], s[14:15], -v[126:127]
	v_fma_f64 v[118:119], v[154:155], s[4:5], v[122:123]
	v_fma_f64 v[122:123], v[154:155], s[4:5], -v[122:123]
	v_add_f64 v[2:3], v[128:129], v[2:3]
	v_mul_f64 v[128:129], v[156:157], s[14:15]
	v_add_f64 v[0:1], v[126:127], v[0:1]
	v_add_f64 v[118:119], v[118:119], v[216:217]
	;; [unrolled: 1-line block ×3, first 2 shown]
	v_fma_f64 v[130:131], v[112:113], s[26:27], v[128:129]
	v_fma_f64 v[126:127], v[112:113], s[16:17], v[128:129]
	v_add_f64 v[6:7], v[130:131], v[6:7]
	v_mul_f64 v[130:131], v[114:115], s[46:47]
	v_add_f64 v[4:5], v[126:127], v[4:5]
	v_fma_f64 v[126:127], v[154:155], s[44:45], v[130:131]
	v_add_f64 v[126:127], v[126:127], v[10:11]
	v_mul_f64 v[10:11], v[156:157], s[44:45]
	v_fma_f64 v[128:129], v[112:113], s[50:51], v[10:11]
	v_add_f64 v[128:129], v[128:129], v[14:15]
	v_fma_f64 v[14:15], v[154:155], s[44:45], -v[130:131]
	v_add_f64 v[130:131], v[14:15], v[8:9]
	v_fma_f64 v[8:9], v[112:113], s[46:47], v[10:11]
	v_add_f64 v[132:133], v[8:9], v[12:13]
	v_mul_f64 v[8:9], v[114:115], s[54:55]
	v_mul_f64 v[12:13], v[156:157], s[20:21]
	v_fma_f64 v[10:11], v[154:155], s[20:21], v[8:9]
	v_fma_f64 v[8:9], v[154:155], s[20:21], -v[8:9]
	v_fma_f64 v[14:15], v[112:113], s[22:23], v[12:13]
	v_fma_f64 v[12:13], v[112:113], s[54:55], v[12:13]
	v_add_f64 v[10:11], v[10:11], v[18:19]
	v_add_f64 v[8:9], v[8:9], v[16:17]
	v_mul_f64 v[16:17], v[114:115], s[2:3]
	v_add_f64 v[12:13], v[12:13], v[150:151]
	v_mul_f64 v[114:115], v[114:115], s[34:35]
	v_add_f64 v[14:15], v[14:15], v[152:153]
	v_fma_f64 v[18:19], v[154:155], s[0:1], v[16:17]
	v_fma_f64 v[16:17], v[154:155], s[0:1], -v[16:17]
	v_add_f64 v[18:19], v[18:19], v[134:135]
	v_mul_f64 v[134:135], v[156:157], s[0:1]
	v_add_f64 v[16:17], v[16:17], v[138:139]
	v_fma_f64 v[150:151], v[112:113], s[18:19], v[134:135]
	v_fma_f64 v[134:135], v[112:113], s[2:3], v[134:135]
	v_add_f64 v[150:151], v[150:151], v[136:137]
	v_add_f64 v[140:141], v[134:135], v[140:141]
	v_fma_f64 v[134:135], v[154:155], s[30:31], v[114:115]
	v_fma_f64 v[114:115], v[154:155], s[30:31], -v[114:115]
	v_add_f64 v[152:153], v[134:135], v[142:143]
	v_mul_f64 v[134:135], v[156:157], s[30:31]
	v_add_f64 v[154:155], v[114:115], v[146:147]
	v_fma_f64 v[136:137], v[112:113], s[52:53], v[134:135]
	v_fma_f64 v[112:113], v[112:113], s[34:35], v[134:135]
	v_add_f64 v[156:157], v[136:137], v[144:145]
	v_add_f64 v[204:205], v[112:113], v[148:149]
	v_add_f64 v[148:149], v[106:107], -v[110:111]
	v_mul_f64 v[104:105], v[148:149], s[34:35]
	v_fma_f64 v[106:107], v[206:207], s[30:31], v[104:105]
	v_fma_f64 v[104:105], v[206:207], s[30:31], -v[104:105]
	v_add_f64 v[158:159], v[106:107], v[158:159]
	v_mul_f64 v[106:107], v[208:209], s[30:31]
	v_add_f64 v[214:215], v[104:105], v[116:117]
	v_fma_f64 v[104:105], v[210:211], s[34:35], v[106:107]
	v_fma_f64 v[108:109], v[210:211], s[52:53], v[106:107]
	v_add_f64 v[216:217], v[104:105], v[162:163]
	v_mul_f64 v[104:105], v[148:149], s[40:41]
	v_add_f64 v[212:213], v[108:109], v[160:161]
	v_add_f64 v[160:161], v[96:97], v[100:101]
	v_add_f64 v[162:163], v[96:97], -v[100:101]
	v_fma_f64 v[106:107], v[206:207], s[24:25], v[104:105]
	v_fma_f64 v[104:105], v[206:207], s[24:25], -v[104:105]
	v_add_f64 v[110:111], v[106:107], v[164:165]
	v_mul_f64 v[106:107], v[208:209], s[24:25]
	v_add_f64 v[114:115], v[104:105], v[200:201]
	v_fma_f64 v[104:105], v[210:211], s[40:41], v[106:107]
	v_fma_f64 v[108:109], v[210:211], s[28:29], v[106:107]
	v_add_f64 v[116:117], v[104:105], v[202:203]
	v_mul_f64 v[104:105], v[148:149], s[2:3]
	v_add_f64 v[112:113], v[108:109], v[166:167]
	v_fma_f64 v[106:107], v[206:207], s[0:1], v[104:105]
	v_fma_f64 v[104:105], v[206:207], s[0:1], -v[104:105]
	v_add_f64 v[118:119], v[106:107], v[118:119]
	v_mul_f64 v[106:107], v[208:209], s[0:1]
	v_add_f64 v[202:203], v[104:105], v[122:123]
	v_fma_f64 v[104:105], v[210:211], s[2:3], v[106:107]
	v_fma_f64 v[108:109], v[210:211], s[18:19], v[106:107]
	v_add_f64 v[124:125], v[104:105], v[124:125]
	v_mul_f64 v[104:105], v[148:149], s[42:43]
	v_add_f64 v[200:201], v[108:109], v[120:121]
	v_fma_f64 v[106:107], v[206:207], s[36:37], v[104:105]
	v_fma_f64 v[104:105], v[206:207], s[36:37], -v[104:105]
	v_add_f64 v[2:3], v[106:107], v[2:3]
	v_mul_f64 v[106:107], v[208:209], s[36:37]
	v_add_f64 v[0:1], v[104:105], v[0:1]
	v_fma_f64 v[108:109], v[210:211], s[48:49], v[106:107]
	v_fma_f64 v[104:105], v[210:211], s[42:43], v[106:107]
	v_mul_f64 v[106:107], v[148:149], s[54:55]
	v_add_f64 v[6:7], v[108:109], v[6:7]
	v_add_f64 v[4:5], v[104:105], v[4:5]
	v_fma_f64 v[104:105], v[206:207], s[20:21], v[106:107]
	v_mul_f64 v[108:109], v[208:209], s[20:21]
	v_fma_f64 v[106:107], v[206:207], s[20:21], -v[106:107]
	v_add_f64 v[138:139], v[104:105], v[126:127]
	v_mul_f64 v[126:127], v[148:149], s[12:13]
	v_fma_f64 v[104:105], v[210:211], s[22:23], v[108:109]
	v_fma_f64 v[108:109], v[210:211], s[54:55], v[108:109]
	v_add_f64 v[106:107], v[106:107], v[130:131]
	v_fma_f64 v[120:121], v[206:207], s[4:5], v[126:127]
	v_add_f64 v[104:105], v[104:105], v[128:129]
	v_add_f64 v[108:109], v[108:109], v[132:133]
	;; [unrolled: 1-line block ×3, first 2 shown]
	v_mul_f64 v[10:11], v[208:209], s[4:5]
	v_fma_f64 v[122:123], v[210:211], s[38:39], v[10:11]
	v_add_f64 v[122:123], v[122:123], v[14:15]
	v_fma_f64 v[14:15], v[206:207], s[4:5], -v[126:127]
	v_add_f64 v[132:133], v[14:15], v[8:9]
	v_fma_f64 v[8:9], v[210:211], s[12:13], v[10:11]
	v_add_f64 v[134:135], v[8:9], v[12:13]
	v_mul_f64 v[8:9], v[148:149], s[46:47]
	v_fma_f64 v[10:11], v[206:207], s[44:45], v[8:9]
	v_fma_f64 v[8:9], v[206:207], s[44:45], -v[8:9]
	v_add_f64 v[136:137], v[10:11], v[18:19]
	v_mul_f64 v[10:11], v[208:209], s[44:45]
	v_add_f64 v[144:145], v[8:9], v[16:17]
	v_fma_f64 v[8:9], v[210:211], s[46:47], v[10:11]
	v_fma_f64 v[12:13], v[210:211], s[50:51], v[10:11]
	v_add_f64 v[146:147], v[8:9], v[140:141]
	v_mul_f64 v[8:9], v[148:149], s[26:27]
	v_add_f64 v[142:143], v[12:13], v[150:151]
	v_fma_f64 v[10:11], v[206:207], s[14:15], v[8:9]
	v_fma_f64 v[8:9], v[206:207], s[14:15], -v[8:9]
	v_add_f64 v[148:149], v[10:11], v[152:153]
	v_mul_f64 v[10:11], v[208:209], s[14:15]
	v_add_f64 v[152:153], v[8:9], v[154:155]
	v_fma_f64 v[12:13], v[210:211], s[16:17], v[10:11]
	v_fma_f64 v[8:9], v[210:211], s[26:27], v[10:11]
	v_add_f64 v[10:11], v[98:99], -v[102:103]
	v_add_f64 v[150:151], v[12:13], v[156:157]
	v_add_f64 v[154:155], v[8:9], v[204:205]
	;; [unrolled: 1-line block ×3, first 2 shown]
	v_mul_f64 v[12:13], v[10:11], s[42:43]
	v_mul_f64 v[16:17], v[8:9], s[36:37]
	v_fma_f64 v[14:15], v[160:161], s[36:37], v[12:13]
	v_fma_f64 v[12:13], v[160:161], s[36:37], -v[12:13]
	v_fma_f64 v[18:19], v[162:163], s[48:49], v[16:17]
	v_add_f64 v[14:15], v[14:15], v[158:159]
	v_add_f64 v[98:99], v[12:13], v[214:215]
	v_fma_f64 v[12:13], v[162:163], s[42:43], v[16:17]
	v_add_f64 v[96:97], v[18:19], v[212:213]
	v_add_f64 v[100:101], v[12:13], v[216:217]
	v_mul_f64 v[12:13], v[10:11], s[26:27]
	v_fma_f64 v[16:17], v[160:161], s[14:15], v[12:13]
	v_fma_f64 v[12:13], v[160:161], s[14:15], -v[12:13]
	v_add_f64 v[164:165], v[16:17], v[110:111]
	v_mul_f64 v[16:17], v[8:9], s[14:15]
	v_add_f64 v[156:157], v[12:13], v[114:115]
	v_add_f64 v[110:111], v[92:93], v[88:89]
	v_fma_f64 v[12:13], v[162:163], s[26:27], v[16:17]
	v_fma_f64 v[18:19], v[162:163], s[16:17], v[16:17]
	v_add_f64 v[158:159], v[12:13], v[116:117]
	v_mul_f64 v[12:13], v[10:11], s[22:23]
	v_add_f64 v[102:103], v[18:19], v[112:113]
	v_fma_f64 v[16:17], v[160:161], s[20:21], v[12:13]
	v_fma_f64 v[12:13], v[160:161], s[20:21], -v[12:13]
	v_add_f64 v[166:167], v[16:17], v[118:119]
	v_mul_f64 v[16:17], v[8:9], s[20:21]
	v_add_f64 v[116:117], v[12:13], v[202:203]
	v_fma_f64 v[12:13], v[162:163], s[22:23], v[16:17]
	v_fma_f64 v[18:19], v[162:163], s[54:55], v[16:17]
	v_add_f64 v[118:119], v[12:13], v[124:125]
	v_mul_f64 v[12:13], v[10:11], s[52:53]
	v_add_f64 v[114:115], v[18:19], v[200:201]
	v_fma_f64 v[16:17], v[160:161], s[30:31], v[12:13]
	v_add_f64 v[130:131], v[16:17], v[2:3]
	v_mul_f64 v[2:3], v[8:9], s[30:31]
	v_fma_f64 v[16:17], v[162:163], s[34:35], v[2:3]
	v_add_f64 v[124:125], v[16:17], v[6:7]
	v_fma_f64 v[6:7], v[160:161], s[30:31], -v[12:13]
	v_mul_f64 v[12:13], v[10:11], s[38:39]
	v_add_f64 v[126:127], v[6:7], v[0:1]
	v_fma_f64 v[0:1], v[162:163], s[52:53], v[2:3]
	v_fma_f64 v[16:17], v[160:161], s[4:5], v[12:13]
	v_fma_f64 v[12:13], v[160:161], s[4:5], -v[12:13]
	v_add_f64 v[128:129], v[0:1], v[4:5]
	v_mul_f64 v[0:1], v[10:11], s[2:3]
	v_fma_f64 v[2:3], v[160:161], s[0:1], v[0:1]
	v_fma_f64 v[0:1], v[160:161], s[0:1], -v[0:1]
	v_add_f64 v[140:141], v[2:3], v[138:139]
	v_mul_f64 v[2:3], v[8:9], s[0:1]
	v_add_f64 v[202:203], v[0:1], v[106:107]
	v_add_f64 v[138:139], v[16:17], v[136:137]
	v_mul_f64 v[16:17], v[8:9], s[4:5]
	v_add_f64 v[106:107], v[92:93], -v[88:89]
	v_fma_f64 v[4:5], v[162:163], s[18:19], v[2:3]
	v_fma_f64 v[0:1], v[162:163], s[2:3], v[2:3]
	;; [unrolled: 1-line block ×3, first 2 shown]
	v_add_f64 v[200:201], v[4:5], v[104:105]
	v_mul_f64 v[4:5], v[8:9], s[44:45]
	v_add_f64 v[204:205], v[0:1], v[108:109]
	v_mul_f64 v[0:1], v[10:11], s[46:47]
	v_mul_f64 v[10:11], v[10:11], s[28:29]
	;; [unrolled: 1-line block ×3, first 2 shown]
	v_fma_f64 v[6:7], v[162:163], s[50:51], v[4:5]
	v_fma_f64 v[4:5], v[162:163], s[46:47], v[4:5]
	;; [unrolled: 1-line block ×3, first 2 shown]
	v_fma_f64 v[0:1], v[160:161], s[44:45], -v[0:1]
	v_add_f64 v[6:7], v[6:7], v[122:123]
	v_add_f64 v[4:5], v[4:5], v[134:135]
	;; [unrolled: 1-line block ×3, first 2 shown]
	v_fma_f64 v[12:13], v[162:163], s[38:39], v[16:17]
	v_add_f64 v[2:3], v[2:3], v[120:121]
	v_add_f64 v[122:123], v[94:95], v[90:91]
	;; [unrolled: 1-line block ×5, first 2 shown]
	v_fma_f64 v[12:13], v[160:161], s[24:25], v[10:11]
	v_fma_f64 v[10:11], v[160:161], s[24:25], -v[10:11]
	v_add_f64 v[120:121], v[12:13], v[148:149]
	v_fma_f64 v[12:13], v[162:163], s[40:41], v[8:9]
	v_fma_f64 v[8:9], v[162:163], s[28:29], v[8:9]
	v_add_f64 v[108:109], v[10:11], v[152:153]
	v_add_f64 v[112:113], v[12:13], v[150:151]
	;; [unrolled: 1-line block ×3, first 2 shown]
	v_add_f64 v[8:9], v[94:95], -v[90:91]
	v_mul_f64 v[10:11], v[8:9], s[46:47]
	v_fma_f64 v[12:13], v[110:111], s[44:45], v[10:11]
	v_fma_f64 v[10:11], v[110:111], s[44:45], -v[10:11]
	v_add_f64 v[92:93], v[12:13], v[14:15]
	v_mul_f64 v[12:13], v[122:123], s[44:45]
	v_add_f64 v[88:89], v[10:11], v[98:99]
	v_fma_f64 v[10:11], v[106:107], s[46:47], v[12:13]
	v_fma_f64 v[14:15], v[106:107], s[50:51], v[12:13]
	v_add_f64 v[90:91], v[10:11], v[100:101]
	v_mul_f64 v[10:11], v[8:9], s[18:19]
	v_add_f64 v[94:95], v[14:15], v[96:97]
	v_fma_f64 v[12:13], v[110:111], s[0:1], v[10:11]
	v_fma_f64 v[10:11], v[110:111], s[0:1], -v[10:11]
	v_add_f64 v[100:101], v[12:13], v[164:165]
	v_mul_f64 v[12:13], v[122:123], s[0:1]
	v_add_f64 v[96:97], v[10:11], v[156:157]
	v_fma_f64 v[10:11], v[106:107], s[18:19], v[12:13]
	v_fma_f64 v[14:15], v[106:107], s[2:3], v[12:13]
	v_add_f64 v[98:99], v[10:11], v[158:159]
	v_mul_f64 v[10:11], v[8:9], s[42:43]
	v_add_f64 v[102:103], v[14:15], v[102:103]
	v_fma_f64 v[12:13], v[110:111], s[36:37], v[10:11]
	v_fma_f64 v[10:11], v[110:111], s[36:37], -v[10:11]
	v_add_f64 v[142:143], v[12:13], v[166:167]
	v_mul_f64 v[12:13], v[122:123], s[36:37]
	v_fma_f64 v[14:15], v[106:107], s[48:49], v[12:13]
	v_add_f64 v[144:145], v[14:15], v[114:115]
	v_add_f64 v[114:115], v[10:11], v[116:117]
	v_fma_f64 v[10:11], v[106:107], s[42:43], v[12:13]
	v_add_f64 v[116:117], v[10:11], v[118:119]
	v_mul_f64 v[10:11], v[8:9], s[38:39]
	v_fma_f64 v[12:13], v[110:111], s[4:5], v[10:11]
	v_fma_f64 v[10:11], v[110:111], s[4:5], -v[10:11]
	v_add_f64 v[146:147], v[12:13], v[130:131]
	v_mul_f64 v[12:13], v[122:123], s[4:5]
	v_fma_f64 v[14:15], v[106:107], s[12:13], v[12:13]
	v_add_f64 v[148:149], v[14:15], v[124:125]
	v_add_f64 v[124:125], v[10:11], v[126:127]
	v_fma_f64 v[10:11], v[106:107], s[38:39], v[12:13]
	v_add_f64 v[126:127], v[10:11], v[128:129]
	v_mul_f64 v[10:11], v[8:9], s[34:35]
	v_fma_f64 v[12:13], v[110:111], s[30:31], v[10:11]
	v_fma_f64 v[10:11], v[110:111], s[30:31], -v[10:11]
	v_add_f64 v[128:129], v[12:13], v[140:141]
	v_mul_f64 v[12:13], v[122:123], s[30:31]
	v_add_f64 v[150:151], v[10:11], v[202:203]
	v_fma_f64 v[10:11], v[106:107], s[34:35], v[12:13]
	v_fma_f64 v[14:15], v[106:107], s[52:53], v[12:13]
	v_add_f64 v[152:153], v[10:11], v[204:205]
	v_mul_f64 v[10:11], v[8:9], s[26:27]
	v_add_f64 v[130:131], v[14:15], v[200:201]
	v_fma_f64 v[12:13], v[110:111], s[14:15], v[10:11]
	v_add_f64 v[154:155], v[12:13], v[2:3]
	v_mul_f64 v[2:3], v[122:123], s[14:15]
	v_fma_f64 v[12:13], v[106:107], s[16:17], v[2:3]
	v_add_f64 v[156:157], v[12:13], v[6:7]
	v_fma_f64 v[6:7], v[110:111], s[14:15], -v[10:11]
	v_add_f64 v[158:159], v[6:7], v[0:1]
	v_fma_f64 v[0:1], v[106:107], s[26:27], v[2:3]
	v_add_f64 v[160:161], v[0:1], v[4:5]
	v_mul_f64 v[0:1], v[8:9], s[28:29]
	v_fma_f64 v[2:3], v[110:111], s[24:25], v[0:1]
	v_fma_f64 v[0:1], v[110:111], s[24:25], -v[0:1]
	v_add_f64 v[138:139], v[2:3], v[138:139]
	v_mul_f64 v[2:3], v[122:123], s[24:25]
	v_fma_f64 v[4:5], v[106:107], s[40:41], v[2:3]
	v_add_f64 v[140:141], v[4:5], v[132:133]
	v_add_f64 v[132:133], v[0:1], v[134:135]
	v_fma_f64 v[0:1], v[106:107], s[28:29], v[2:3]
	v_add_f64 v[134:135], v[0:1], v[136:137]
	v_mul_f64 v[0:1], v[8:9], s[54:55]
	v_fma_f64 v[2:3], v[110:111], s[20:21], v[0:1]
	v_fma_f64 v[0:1], v[110:111], s[20:21], -v[0:1]
	v_add_f64 v[118:119], v[2:3], v[120:121]
	v_mul_f64 v[2:3], v[122:123], s[20:21]
	v_add_f64 v[108:109], v[0:1], v[108:109]
	v_fma_f64 v[4:5], v[106:107], s[22:23], v[2:3]
	v_fma_f64 v[0:1], v[106:107], s[54:55], v[2:3]
	v_add_f64 v[120:121], v[4:5], v[112:113]
	v_add_f64 v[110:111], v[0:1], v[104:105]
	ds_write_b128 v239, v[20:23]
	ds_write_b128 v239, v[92:95] offset:16
	ds_write_b128 v239, v[100:103] offset:32
	;; [unrolled: 1-line block ×16, first 2 shown]
	s_and_saveexec_b32 s33, vcc_lo
	s_cbranch_execz .LBB0_13
; %bb.12:
	s_clause 0x1b
	buffer_load_dword v40, off, s[60:63], 0 offset:324
	buffer_load_dword v41, off, s[60:63], 0 offset:328
	;; [unrolled: 1-line block ×28, first 2 shown]
	v_add_f64 v[124:125], v[80:81], -v[76:77]
	v_add_f64 v[132:133], v[82:83], v[78:79]
	v_add_f64 v[210:211], v[82:83], -v[78:79]
	v_add_f64 v[160:161], v[80:81], v[76:77]
	v_mul_f64 v[0:1], v[124:125], s[54:55]
	v_fma_f64 v[2:3], v[132:133], s[20:21], v[0:1]
	v_fma_f64 v[0:1], v[132:133], s[20:21], -v[0:1]
	s_waitcnt vmcnt(26)
	v_add_f64 v[126:127], v[84:85], -v[40:41]
	s_waitcnt vmcnt(22)
	v_add_f64 v[146:147], v[48:49], -v[36:37]
	;; [unrolled: 2-line block ×7, first 2 shown]
	s_waitcnt vmcnt(0)
	v_add_f64 v[158:159], v[74:75], v[251:252]
	v_add_f64 v[144:145], v[66:67], v[22:23]
	v_add_f64 v[224:225], v[74:75], -v[251:252]
	v_add_f64 v[142:143], v[62:63], v[26:27]
	v_add_f64 v[222:223], v[66:67], -v[22:23]
	v_add_f64 v[206:207], v[72:73], v[249:250]
	v_add_f64 v[140:141], v[58:59], v[30:31]
	v_add_f64 v[220:221], v[62:63], -v[26:27]
	v_add_f64 v[204:205], v[64:65], v[20:21]
	;; [unrolled: 3-line block ×4, first 2 shown]
	v_mul_f64 v[4:5], v[126:127], s[28:29]
	v_mul_f64 v[8:9], v[146:147], s[26:27]
	;; [unrolled: 1-line block ×7, first 2 shown]
	v_add_f64 v[134:135], v[86:87], v[42:43]
	v_add_f64 v[214:215], v[50:51], -v[38:39]
	v_mul_f64 v[112:113], v[224:225], s[46:47]
	v_add_f64 v[166:167], v[52:53], v[32:33]
	v_mul_f64 v[108:109], v[222:223], s[18:19]
	v_add_f64 v[212:213], v[86:87], -v[42:43]
	v_add_f64 v[164:165], v[48:49], v[36:37]
	v_mul_f64 v[104:105], v[220:221], s[42:43]
	v_add_f64 v[162:163], v[84:85], v[40:41]
	v_mul_f64 v[118:119], v[208:209], s[28:29]
	v_mul_f64 v[100:101], v[218:219], s[38:39]
	;; [unrolled: 1-line block ×7, first 2 shown]
	v_fma_f64 v[10:11], v[136:137], s[14:15], v[8:9]
	v_fma_f64 v[14:15], v[138:139], s[30:31], v[12:13]
	;; [unrolled: 1-line block ×7, first 2 shown]
	v_fma_f64 v[4:5], v[134:135], s[24:25], -v[4:5]
	v_fma_f64 v[114:115], v[206:207], s[44:45], -v[112:113]
	v_mul_f64 v[245:246], v[224:225], s[12:13]
	v_fma_f64 v[110:111], v[204:205], s[0:1], -v[108:109]
	v_mul_f64 v[241:242], v[222:223], s[22:23]
	v_fma_f64 v[106:107], v[202:203], s[36:37], -v[104:105]
	v_fma_f64 v[102:103], v[200:201], s[4:5], -v[100:101]
	;; [unrolled: 1-line block ×7, first 2 shown]
	v_add_f64 v[98:99], v[70:71], v[98:99]
	v_add_f64 v[114:115], v[68:69], v[114:115]
	v_fma_f64 v[247:248], v[206:207], s[4:5], -v[245:246]
	v_fma_f64 v[243:244], v[204:205], s[20:21], -v[241:242]
	v_add_f64 v[228:229], v[68:69], v[228:229]
	v_add_f64 v[239:240], v[68:69], v[239:240]
	v_add_f64 v[94:95], v[94:95], v[98:99]
	v_add_f64 v[110:111], v[110:111], v[114:115]
	v_add_f64 v[247:248], v[68:69], v[247:248]
	v_add_f64 v[156:157], v[156:157], v[228:229]
	v_add_f64 v[232:233], v[232:233], v[239:240]
	v_add_f64 v[90:91], v[90:91], v[94:95]
	v_mul_f64 v[94:95], v[216:217], s[34:35]
	v_add_f64 v[106:107], v[106:107], v[110:111]
	v_add_f64 v[243:244], v[243:244], v[247:248]
	;; [unrolled: 1-line block ×3, first 2 shown]
	v_fma_f64 v[98:99], v[166:167], s[30:31], -v[94:95]
	v_add_f64 v[102:103], v[102:103], v[106:107]
	v_add_f64 v[14:15], v[14:15], v[18:19]
	v_mul_f64 v[18:19], v[214:215], s[26:27]
	v_add_f64 v[98:99], v[98:99], v[102:103]
	v_add_f64 v[10:11], v[10:11], v[14:15]
	v_fma_f64 v[90:91], v[164:165], s[14:15], -v[18:19]
	v_add_f64 v[6:7], v[6:7], v[10:11]
	v_mul_f64 v[10:11], v[212:213], s[28:29]
	v_add_f64 v[90:91], v[90:91], v[98:99]
	v_add_f64 v[116:117], v[2:3], v[6:7]
	v_mul_f64 v[2:3], v[210:211], s[54:55]
	v_fma_f64 v[14:15], v[162:163], s[24:25], -v[10:11]
	v_fma_f64 v[6:7], v[160:161], s[20:21], -v[2:3]
	v_add_f64 v[14:15], v[14:15], v[90:91]
	v_add_f64 v[114:115], v[6:7], v[14:15]
	v_fma_f64 v[14:15], v[142:143], s[36:37], -v[88:89]
	v_fma_f64 v[88:89], v[158:159], s[44:45], -v[96:97]
	;; [unrolled: 1-line block ×6, first 2 shown]
	v_mul_f64 v[96:97], v[208:209], s[42:43]
	v_mul_f64 v[92:93], v[154:155], s[26:27]
	buffer_store_dword v114, off, s[60:63], 0 offset:1240 ; 4-byte Folded Spill
	buffer_store_dword v115, off, s[60:63], 0 offset:1244 ; 4-byte Folded Spill
	;; [unrolled: 1-line block ×4, first 2 shown]
	v_add_f64 v[88:89], v[70:71], v[88:89]
	v_fma_f64 v[98:99], v[158:159], s[36:37], v[96:97]
	v_add_f64 v[16:17], v[16:17], v[88:89]
	v_mul_f64 v[88:89], v[152:153], s[22:23]
	v_add_f64 v[98:99], v[70:71], v[98:99]
	v_add_f64 v[14:15], v[14:15], v[16:17]
	v_fma_f64 v[90:91], v[142:143], s[20:21], v[88:89]
	v_add_f64 v[12:13], v[12:13], v[14:15]
	v_fma_f64 v[14:15], v[206:207], s[44:45], v[112:113]
	v_mul_f64 v[112:113], v[224:225], s[42:43]
	v_add_f64 v[8:9], v[8:9], v[12:13]
	v_fma_f64 v[12:13], v[204:205], s[0:1], v[108:109]
	v_add_f64 v[14:15], v[68:69], v[14:15]
	v_mul_f64 v[108:109], v[222:223], s[26:27]
	v_fma_f64 v[114:115], v[206:207], s[36:37], -v[112:113]
	v_add_f64 v[6:7], v[6:7], v[8:9]
	v_fma_f64 v[8:9], v[200:201], s[4:5], v[100:101]
	v_add_f64 v[12:13], v[12:13], v[14:15]
	v_fma_f64 v[110:111], v[204:205], s[14:15], -v[108:109]
	v_add_f64 v[114:115], v[68:69], v[114:115]
	v_mul_f64 v[100:101], v[218:219], s[52:53]
	v_add_f64 v[4:5], v[4:5], v[6:7]
	v_fma_f64 v[6:7], v[166:167], s[30:31], v[94:95]
	v_fma_f64 v[94:95], v[144:145], s[14:15], v[92:93]
	v_add_f64 v[110:111], v[110:111], v[114:115]
	v_fma_f64 v[102:103], v[200:201], s[30:31], -v[100:101]
	v_add_f64 v[16:17], v[0:1], v[4:5]
	v_fma_f64 v[0:1], v[160:161], s[20:21], v[2:3]
	v_fma_f64 v[2:3], v[162:163], s[24:25], v[10:11]
	;; [unrolled: 1-line block ×4, first 2 shown]
	v_add_f64 v[94:95], v[94:95], v[98:99]
	v_mul_f64 v[104:105], v[220:221], s[22:23]
	v_add_f64 v[10:11], v[10:11], v[12:13]
	v_mul_f64 v[12:13], v[148:149], s[2:3]
	v_add_f64 v[90:91], v[90:91], v[94:95]
	v_fma_f64 v[106:107], v[202:203], s[20:21], -v[104:105]
	v_mul_f64 v[94:95], v[216:217], s[2:3]
	v_add_f64 v[8:9], v[8:9], v[10:11]
	v_add_f64 v[106:107], v[106:107], v[110:111]
	v_fma_f64 v[98:99], v[166:167], s[0:1], -v[94:95]
	v_mul_f64 v[110:111], v[222:223], s[40:41]
	v_add_f64 v[6:7], v[6:7], v[8:9]
	v_mul_f64 v[8:9], v[146:147], s[46:47]
	v_add_f64 v[102:103], v[102:103], v[106:107]
	;; [unrolled: 2-line block ×3, first 2 shown]
	v_fma_f64 v[10:11], v[136:137], s[44:45], v[8:9]
	v_add_f64 v[98:99], v[98:99], v[102:103]
	v_add_f64 v[2:3], v[2:3], v[4:5]
	v_mul_f64 v[4:5], v[126:127], s[38:39]
	v_add_f64 v[14:15], v[0:1], v[2:3]
	v_mul_f64 v[0:1], v[124:125], s[28:29]
	v_fma_f64 v[6:7], v[134:135], s[4:5], v[4:5]
	v_fma_f64 v[4:5], v[134:135], s[4:5], -v[4:5]
	buffer_store_dword v14, off, s[60:63], 0 offset:1256 ; 4-byte Folded Spill
	buffer_store_dword v15, off, s[60:63], 0 offset:1260 ; 4-byte Folded Spill
	;; [unrolled: 1-line block ×4, first 2 shown]
	v_mul_f64 v[16:17], v[150:151], s[52:53]
	v_fma_f64 v[14:15], v[138:139], s[0:1], v[12:13]
	v_fma_f64 v[2:3], v[132:133], s[24:25], v[0:1]
	v_fma_f64 v[0:1], v[132:133], s[24:25], -v[0:1]
	v_fma_f64 v[18:19], v[140:141], s[30:31], v[16:17]
	v_add_f64 v[18:19], v[18:19], v[90:91]
	v_add_f64 v[14:15], v[14:15], v[18:19]
	v_mul_f64 v[18:19], v[214:215], s[46:47]
	v_add_f64 v[10:11], v[10:11], v[14:15]
	v_fma_f64 v[90:91], v[164:165], s[44:45], -v[18:19]
	v_add_f64 v[6:7], v[6:7], v[10:11]
	v_mul_f64 v[10:11], v[212:213], s[38:39]
	v_add_f64 v[90:91], v[90:91], v[98:99]
	v_add_f64 v[116:117], v[2:3], v[6:7]
	v_mul_f64 v[2:3], v[210:211], s[28:29]
	v_fma_f64 v[14:15], v[162:163], s[4:5], -v[10:11]
	v_fma_f64 v[6:7], v[160:161], s[24:25], -v[2:3]
	v_add_f64 v[14:15], v[14:15], v[90:91]
	v_add_f64 v[114:115], v[6:7], v[14:15]
	v_fma_f64 v[14:15], v[142:143], s[20:21], -v[88:89]
	v_fma_f64 v[88:89], v[158:159], s[36:37], -v[96:97]
	;; [unrolled: 1-line block ×6, first 2 shown]
	v_mul_f64 v[96:97], v[208:209], s[34:35]
	v_mul_f64 v[92:93], v[154:155], s[40:41]
	buffer_store_dword v114, off, s[60:63], 0 offset:1272 ; 4-byte Folded Spill
	buffer_store_dword v115, off, s[60:63], 0 offset:1276 ; 4-byte Folded Spill
	;; [unrolled: 1-line block ×4, first 2 shown]
	v_mul_f64 v[114:115], v[224:225], s[34:35]
	v_add_f64 v[88:89], v[70:71], v[88:89]
	v_fma_f64 v[98:99], v[158:159], s[30:31], v[96:97]
	v_fma_f64 v[116:117], v[206:207], s[30:31], -v[114:115]
	v_add_f64 v[16:17], v[16:17], v[88:89]
	v_mul_f64 v[88:89], v[152:153], s[2:3]
	v_add_f64 v[98:99], v[70:71], v[98:99]
	v_add_f64 v[116:117], v[68:69], v[116:117]
	;; [unrolled: 1-line block ×3, first 2 shown]
	v_fma_f64 v[90:91], v[142:143], s[0:1], v[88:89]
	v_add_f64 v[12:13], v[12:13], v[14:15]
	v_fma_f64 v[14:15], v[206:207], s[36:37], v[112:113]
	v_fma_f64 v[112:113], v[204:205], s[24:25], -v[110:111]
	v_add_f64 v[8:9], v[8:9], v[12:13]
	v_fma_f64 v[12:13], v[204:205], s[14:15], v[108:109]
	v_add_f64 v[14:15], v[68:69], v[14:15]
	v_fma_f64 v[108:109], v[202:203], s[0:1], -v[106:107]
	v_add_f64 v[112:113], v[112:113], v[116:117]
	v_mul_f64 v[116:117], v[154:155], s[48:49]
	v_add_f64 v[6:7], v[6:7], v[8:9]
	v_fma_f64 v[8:9], v[200:201], s[30:31], v[100:101]
	v_add_f64 v[12:13], v[12:13], v[14:15]
	v_add_f64 v[108:109], v[108:109], v[112:113]
	v_mul_f64 v[112:113], v[220:221], s[38:39]
	v_add_f64 v[4:5], v[4:5], v[6:7]
	v_fma_f64 v[6:7], v[166:167], s[0:1], v[94:95]
	v_fma_f64 v[94:95], v[144:145], s[24:25], v[92:93]
	v_add_f64 v[16:17], v[0:1], v[4:5]
	v_fma_f64 v[0:1], v[160:161], s[24:25], v[2:3]
	v_fma_f64 v[2:3], v[162:163], s[4:5], v[10:11]
	;; [unrolled: 1-line block ×4, first 2 shown]
	v_add_f64 v[94:95], v[94:95], v[98:99]
	v_mul_f64 v[104:105], v[218:219], s[42:43]
	v_add_f64 v[10:11], v[10:11], v[12:13]
	v_mul_f64 v[12:13], v[148:149], s[54:55]
	;; [unrolled: 2-line block ×3, first 2 shown]
	v_fma_f64 v[100:101], v[200:201], s[36:37], -v[104:105]
	v_add_f64 v[8:9], v[8:9], v[10:11]
	v_fma_f64 v[98:99], v[166:167], s[20:21], -v[94:95]
	v_add_f64 v[100:101], v[100:101], v[108:109]
	v_mul_f64 v[108:109], v[218:219], s[16:17]
	v_add_f64 v[6:7], v[6:7], v[8:9]
	v_mul_f64 v[8:9], v[146:147], s[12:13]
	v_add_f64 v[98:99], v[98:99], v[100:101]
	v_add_f64 v[4:5], v[4:5], v[6:7]
	v_fma_f64 v[10:11], v[136:137], s[4:5], v[8:9]
	v_add_f64 v[2:3], v[2:3], v[4:5]
	v_mul_f64 v[4:5], v[126:127], s[46:47]
	v_add_f64 v[14:15], v[0:1], v[2:3]
	v_mul_f64 v[0:1], v[124:125], s[26:27]
	buffer_store_dword v14, off, s[60:63], 0 offset:1288 ; 4-byte Folded Spill
	buffer_store_dword v15, off, s[60:63], 0 offset:1292 ; 4-byte Folded Spill
	;; [unrolled: 1-line block ×4, first 2 shown]
	v_mul_f64 v[16:17], v[150:151], s[42:43]
	v_fma_f64 v[14:15], v[138:139], s[20:21], v[12:13]
	v_fma_f64 v[6:7], v[134:135], s[44:45], v[4:5]
	;; [unrolled: 1-line block ×3, first 2 shown]
	v_fma_f64 v[4:5], v[134:135], s[44:45], -v[4:5]
	v_fma_f64 v[0:1], v[132:133], s[14:15], -v[0:1]
	v_fma_f64 v[18:19], v[140:141], s[36:37], v[16:17]
	v_add_f64 v[18:19], v[18:19], v[90:91]
	v_add_f64 v[14:15], v[14:15], v[18:19]
	v_mul_f64 v[18:19], v[214:215], s[12:13]
	v_add_f64 v[10:11], v[10:11], v[14:15]
	v_fma_f64 v[90:91], v[164:165], s[4:5], -v[18:19]
	v_add_f64 v[6:7], v[6:7], v[10:11]
	v_mul_f64 v[10:11], v[212:213], s[46:47]
	v_add_f64 v[90:91], v[90:91], v[98:99]
	v_add_f64 v[102:103], v[2:3], v[6:7]
	v_mul_f64 v[2:3], v[210:211], s[26:27]
	v_fma_f64 v[14:15], v[162:163], s[44:45], -v[10:11]
	v_fma_f64 v[6:7], v[160:161], s[14:15], -v[2:3]
	v_add_f64 v[14:15], v[14:15], v[90:91]
	v_fma_f64 v[90:91], v[144:145], s[36:37], v[116:117]
	v_add_f64 v[100:101], v[6:7], v[14:15]
	v_fma_f64 v[14:15], v[142:143], s[0:1], -v[88:89]
	v_fma_f64 v[88:89], v[158:159], s[30:31], -v[96:97]
	;; [unrolled: 1-line block ×6, first 2 shown]
	v_fma_f64 v[92:93], v[158:159], s[24:25], v[118:119]
	v_add_f64 v[88:89], v[70:71], v[88:89]
	v_add_f64 v[92:93], v[70:71], v[92:93]
	;; [unrolled: 1-line block ×4, first 2 shown]
	v_mul_f64 v[92:93], v[214:215], s[54:55]
	v_add_f64 v[14:15], v[14:15], v[16:17]
	v_mul_f64 v[16:17], v[150:151], s[16:17]
	v_add_f64 v[12:13], v[12:13], v[14:15]
	v_fma_f64 v[14:15], v[206:207], s[30:31], v[114:115]
	v_mul_f64 v[114:115], v[224:225], s[28:29]
	v_add_f64 v[8:9], v[8:9], v[12:13]
	v_fma_f64 v[12:13], v[204:205], s[24:25], v[110:111]
	v_add_f64 v[14:15], v[68:69], v[14:15]
	v_mul_f64 v[110:111], v[152:153], s[38:39]
	v_fma_f64 v[128:129], v[206:207], s[24:25], -v[114:115]
	v_add_f64 v[6:7], v[6:7], v[8:9]
	v_fma_f64 v[8:9], v[200:201], s[36:37], v[104:105]
	v_add_f64 v[12:13], v[12:13], v[14:15]
	v_fma_f64 v[88:89], v[142:143], s[4:5], v[110:111]
	v_add_f64 v[128:129], v[68:69], v[128:129]
	v_fma_f64 v[104:105], v[202:203], s[4:5], -v[112:113]
	v_add_f64 v[4:5], v[4:5], v[6:7]
	v_fma_f64 v[6:7], v[166:167], s[20:21], v[94:95]
	v_mul_f64 v[94:95], v[216:217], s[46:47]
	v_add_f64 v[88:89], v[88:89], v[90:91]
	v_add_f64 v[122:123], v[122:123], v[128:129]
	v_mul_f64 v[90:91], v[212:213], s[2:3]
	v_add_f64 v[98:99], v[0:1], v[4:5]
	v_fma_f64 v[0:1], v[160:161], s[14:15], v[2:3]
	v_fma_f64 v[2:3], v[162:163], s[44:45], v[10:11]
	;; [unrolled: 1-line block ×5, first 2 shown]
	v_add_f64 v[104:105], v[104:105], v[122:123]
	v_mul_f64 v[122:123], v[220:221], s[40:41]
	v_add_f64 v[10:11], v[10:11], v[12:13]
	v_mul_f64 v[12:13], v[148:149], s[46:47]
	;; [unrolled: 2-line block ×3, first 2 shown]
	v_fma_f64 v[128:129], v[202:203], s[24:25], -v[122:123]
	v_add_f64 v[8:9], v[8:9], v[10:11]
	v_fma_f64 v[14:15], v[138:139], s[44:45], v[12:13]
	v_add_f64 v[128:129], v[128:129], v[156:157]
	v_add_f64 v[6:7], v[6:7], v[8:9]
	v_mul_f64 v[8:9], v[146:147], s[54:55]
	v_add_f64 v[14:15], v[14:15], v[18:19]
	v_fma_f64 v[18:19], v[200:201], s[14:15], -v[108:109]
	v_add_f64 v[4:5], v[4:5], v[6:7]
	v_fma_f64 v[10:11], v[136:137], s[20:21], v[8:9]
	v_add_f64 v[18:19], v[18:19], v[104:105]
	v_add_f64 v[2:3], v[2:3], v[4:5]
	v_mul_f64 v[4:5], v[126:127], s[2:3]
	v_add_f64 v[10:11], v[10:11], v[14:15]
	v_fma_f64 v[14:15], v[166:167], s[44:45], -v[94:95]
	v_add_f64 v[96:97], v[0:1], v[2:3]
	v_mul_f64 v[0:1], v[124:125], s[34:35]
	v_fma_f64 v[6:7], v[134:135], s[0:1], v[4:5]
	v_add_f64 v[14:15], v[14:15], v[18:19]
	v_fma_f64 v[2:3], v[132:133], s[30:31], v[0:1]
	v_add_f64 v[6:7], v[6:7], v[10:11]
	v_fma_f64 v[10:11], v[164:165], s[20:21], -v[92:93]
	v_fma_f64 v[0:1], v[132:133], s[30:31], -v[0:1]
	v_add_f64 v[106:107], v[2:3], v[6:7]
	v_fma_f64 v[6:7], v[162:163], s[0:1], -v[90:91]
	v_add_f64 v[10:11], v[10:11], v[14:15]
	v_fma_f64 v[2:3], v[160:161], s[30:31], -v[88:89]
	v_fma_f64 v[14:15], v[158:159], s[24:25], -v[118:119]
	v_add_f64 v[6:7], v[6:7], v[10:11]
	v_fma_f64 v[10:11], v[142:143], s[4:5], -v[110:111]
	v_add_f64 v[14:15], v[70:71], v[14:15]
	v_add_f64 v[104:105], v[2:3], v[6:7]
	v_fma_f64 v[6:7], v[138:139], s[44:45], -v[12:13]
	v_fma_f64 v[12:13], v[144:145], s[36:37], -v[116:117]
	v_fma_f64 v[2:3], v[134:135], s[0:1], -v[4:5]
	v_fma_f64 v[4:5], v[136:137], s[20:21], -v[8:9]
	v_fma_f64 v[8:9], v[140:141], s[14:15], -v[16:17]
	v_mul_f64 v[116:117], v[208:209], s[22:23]
	v_mul_f64 v[16:17], v[150:151], s[18:19]
	v_add_f64 v[12:13], v[12:13], v[14:15]
	v_fma_f64 v[14:15], v[206:207], s[24:25], v[114:115]
	v_fma_f64 v[18:19], v[140:141], s[0:1], v[16:17]
	v_add_f64 v[10:11], v[10:11], v[12:13]
	v_fma_f64 v[12:13], v[204:205], s[36:37], v[120:121]
	v_add_f64 v[14:15], v[68:69], v[14:15]
	v_mul_f64 v[120:121], v[218:219], s[18:19]
	v_add_f64 v[8:9], v[8:9], v[10:11]
	v_fma_f64 v[10:11], v[202:203], s[4:5], v[112:113]
	v_add_f64 v[12:13], v[12:13], v[14:15]
	v_fma_f64 v[112:113], v[158:159], s[20:21], v[116:117]
	v_fma_f64 v[118:119], v[200:201], s[0:1], -v[120:121]
	v_add_f64 v[6:7], v[6:7], v[8:9]
	v_fma_f64 v[8:9], v[200:201], s[14:15], v[108:109]
	v_add_f64 v[10:11], v[10:11], v[12:13]
	v_add_f64 v[112:113], v[70:71], v[112:113]
	v_mul_f64 v[12:13], v[148:149], s[16:17]
	v_add_f64 v[118:119], v[118:119], v[128:129]
	v_mul_f64 v[128:129], v[216:217], s[38:39]
	v_add_f64 v[4:5], v[4:5], v[6:7]
	v_fma_f64 v[6:7], v[166:167], s[44:45], v[94:95]
	v_add_f64 v[8:9], v[8:9], v[10:11]
	v_fma_f64 v[14:15], v[138:139], s[14:15], v[12:13]
	;; [unrolled: 2-line block ×3, first 2 shown]
	v_mul_f64 v[92:93], v[154:155], s[46:47]
	v_add_f64 v[6:7], v[6:7], v[8:9]
	v_mul_f64 v[8:9], v[146:147], s[42:43]
	v_add_f64 v[110:111], v[0:1], v[2:3]
	v_fma_f64 v[0:1], v[160:161], s[30:31], v[88:89]
	v_mul_f64 v[88:89], v[152:153], s[40:41]
	v_fma_f64 v[94:95], v[144:145], s[44:45], v[92:93]
	v_fma_f64 v[2:3], v[162:163], s[0:1], v[90:91]
	v_add_f64 v[4:5], v[4:5], v[6:7]
	v_fma_f64 v[10:11], v[136:137], s[36:37], v[8:9]
	v_fma_f64 v[90:91], v[142:143], s[24:25], v[88:89]
	v_add_f64 v[94:95], v[94:95], v[112:113]
	v_add_f64 v[2:3], v[2:3], v[4:5]
	v_mul_f64 v[4:5], v[126:127], s[52:53]
	v_add_f64 v[90:91], v[90:91], v[94:95]
	v_mul_f64 v[94:95], v[216:217], s[16:17]
	;; [unrolled: 2-line block ×3, first 2 shown]
	v_fma_f64 v[6:7], v[134:135], s[30:31], v[4:5]
	v_fma_f64 v[4:5], v[134:135], s[30:31], -v[4:5]
	v_add_f64 v[18:19], v[18:19], v[90:91]
	v_fma_f64 v[112:113], v[166:167], s[14:15], -v[94:95]
	v_fma_f64 v[2:3], v[132:133], s[4:5], v[0:1]
	v_fma_f64 v[0:1], v[132:133], s[4:5], -v[0:1]
	v_add_f64 v[14:15], v[14:15], v[18:19]
	v_mul_f64 v[18:19], v[214:215], s[42:43]
	v_add_f64 v[112:113], v[112:113], v[118:119]
	v_add_f64 v[10:11], v[10:11], v[14:15]
	v_fma_f64 v[90:91], v[164:165], s[36:37], -v[18:19]
	v_add_f64 v[6:7], v[6:7], v[10:11]
	v_mul_f64 v[10:11], v[212:213], s[52:53]
	v_add_f64 v[90:91], v[90:91], v[112:113]
	v_add_f64 v[114:115], v[2:3], v[6:7]
	v_mul_f64 v[2:3], v[210:211], s[38:39]
	v_fma_f64 v[14:15], v[162:163], s[30:31], -v[10:11]
	v_fma_f64 v[6:7], v[160:161], s[4:5], -v[2:3]
	v_add_f64 v[14:15], v[14:15], v[90:91]
	v_add_f64 v[112:113], v[6:7], v[14:15]
	v_fma_f64 v[14:15], v[142:143], s[24:25], -v[88:89]
	v_fma_f64 v[88:89], v[158:159], s[20:21], -v[116:117]
	;; [unrolled: 1-line block ×6, first 2 shown]
	v_add_f64 v[88:89], v[70:71], v[88:89]
	v_add_f64 v[16:17], v[16:17], v[88:89]
	v_mul_f64 v[88:89], v[152:153], s[50:51]
	v_add_f64 v[14:15], v[14:15], v[16:17]
	v_mul_f64 v[16:17], v[150:151], s[40:41]
	v_fma_f64 v[90:91], v[142:143], s[44:45], v[88:89]
	v_add_f64 v[12:13], v[12:13], v[14:15]
	v_fma_f64 v[14:15], v[206:207], s[20:21], v[226:227]
	v_mul_f64 v[226:227], v[220:221], s[50:51]
	v_add_f64 v[8:9], v[8:9], v[12:13]
	v_fma_f64 v[12:13], v[204:205], s[44:45], v[130:131]
	v_add_f64 v[14:15], v[68:69], v[14:15]
	v_mul_f64 v[130:131], v[218:219], s[40:41]
	v_fma_f64 v[228:229], v[202:203], s[44:45], -v[226:227]
	v_add_f64 v[6:7], v[6:7], v[8:9]
	v_fma_f64 v[8:9], v[200:201], s[0:1], v[120:121]
	v_add_f64 v[12:13], v[12:13], v[14:15]
	v_mul_f64 v[120:121], v[154:155], s[34:35]
	v_fma_f64 v[156:157], v[200:201], s[24:25], -v[130:131]
	v_add_f64 v[228:229], v[228:229], v[232:233]
	v_add_f64 v[4:5], v[4:5], v[6:7]
	v_fma_f64 v[6:7], v[166:167], s[14:15], v[94:95]
	v_fma_f64 v[92:93], v[144:145], s[30:31], v[120:121]
	v_add_f64 v[156:157], v[156:157], v[228:229]
	v_add_f64 v[118:119], v[0:1], v[4:5]
	v_fma_f64 v[0:1], v[160:161], s[4:5], v[2:3]
	v_fma_f64 v[2:3], v[162:163], s[30:31], v[10:11]
	;; [unrolled: 1-line block ×3, first 2 shown]
	v_mul_f64 v[122:123], v[208:209], s[16:17]
	v_fma_f64 v[4:5], v[164:165], s[36:37], v[18:19]
	v_fma_f64 v[18:19], v[140:141], s[24:25], v[16:17]
	v_add_f64 v[10:11], v[10:11], v[12:13]
	v_fma_f64 v[94:95], v[158:159], s[14:15], v[122:123]
	v_mul_f64 v[12:13], v[148:149], s[38:39]
	v_add_f64 v[8:9], v[8:9], v[10:11]
	v_add_f64 v[94:95], v[70:71], v[94:95]
	v_fma_f64 v[14:15], v[138:139], s[4:5], v[12:13]
	v_add_f64 v[6:7], v[6:7], v[8:9]
	v_add_f64 v[92:93], v[92:93], v[94:95]
	v_mul_f64 v[8:9], v[146:147], s[2:3]
	v_add_f64 v[4:5], v[4:5], v[6:7]
	v_add_f64 v[90:91], v[90:91], v[92:93]
	v_fma_f64 v[10:11], v[136:137], s[0:1], v[8:9]
	v_fma_f64 v[92:93], v[166:167], s[4:5], -v[128:129]
	v_add_f64 v[2:3], v[2:3], v[4:5]
	v_add_f64 v[18:19], v[18:19], v[90:91]
	v_mul_f64 v[4:5], v[126:127], s[22:23]
	v_add_f64 v[92:93], v[92:93], v[156:157]
	v_mul_f64 v[156:157], v[208:209], s[12:13]
	v_add_f64 v[116:117], v[0:1], v[2:3]
	v_add_f64 v[14:15], v[14:15], v[18:19]
	v_mul_f64 v[0:1], v[124:125], s[42:43]
	v_fma_f64 v[6:7], v[134:135], s[20:21], v[4:5]
	v_mul_f64 v[18:19], v[214:215], s[2:3]
	v_fma_f64 v[4:5], v[134:135], s[20:21], -v[4:5]
	v_add_f64 v[10:11], v[10:11], v[14:15]
	v_fma_f64 v[2:3], v[132:133], s[36:37], v[0:1]
	v_fma_f64 v[0:1], v[132:133], s[36:37], -v[0:1]
	v_fma_f64 v[90:91], v[164:165], s[0:1], -v[18:19]
	v_add_f64 v[6:7], v[6:7], v[10:11]
	v_mul_f64 v[10:11], v[212:213], s[22:23]
	v_add_f64 v[90:91], v[90:91], v[92:93]
	v_add_f64 v[94:95], v[2:3], v[6:7]
	v_mul_f64 v[2:3], v[210:211], s[42:43]
	v_fma_f64 v[14:15], v[162:163], s[20:21], -v[10:11]
	v_fma_f64 v[6:7], v[160:161], s[36:37], -v[2:3]
	v_add_f64 v[14:15], v[14:15], v[90:91]
	v_add_f64 v[92:93], v[6:7], v[14:15]
	v_fma_f64 v[14:15], v[142:143], s[44:45], -v[88:89]
	v_fma_f64 v[88:89], v[158:159], s[14:15], -v[122:123]
	;; [unrolled: 1-line block ×6, first 2 shown]
	v_add_f64 v[88:89], v[70:71], v[88:89]
	v_add_f64 v[16:17], v[16:17], v[88:89]
	;; [unrolled: 1-line block ×3, first 2 shown]
	v_mul_f64 v[16:17], v[150:151], s[46:47]
	v_add_f64 v[12:13], v[12:13], v[14:15]
	v_fma_f64 v[14:15], v[206:207], s[14:15], v[234:235]
	v_mul_f64 v[234:235], v[220:221], s[34:35]
	v_add_f64 v[8:9], v[8:9], v[12:13]
	v_fma_f64 v[12:13], v[204:205], s[30:31], v[230:231]
	v_add_f64 v[14:15], v[68:69], v[14:15]
	v_mul_f64 v[230:231], v[218:219], s[46:47]
	v_fma_f64 v[239:240], v[202:203], s[30:31], -v[234:235]
	v_add_f64 v[6:7], v[6:7], v[8:9]
	v_fma_f64 v[8:9], v[200:201], s[24:25], v[130:131]
	v_add_f64 v[12:13], v[12:13], v[14:15]
	v_mul_f64 v[130:131], v[154:155], s[22:23]
	v_fma_f64 v[232:233], v[200:201], s[44:45], -v[230:231]
	v_add_f64 v[239:240], v[239:240], v[243:244]
	v_add_f64 v[4:5], v[4:5], v[6:7]
	v_fma_f64 v[6:7], v[166:167], s[4:5], v[128:129]
	v_mul_f64 v[128:129], v[152:153], s[34:35]
	v_fma_f64 v[90:91], v[144:145], s[20:21], v[130:131]
	v_add_f64 v[232:233], v[232:233], v[239:240]
	v_add_f64 v[122:123], v[0:1], v[4:5]
	v_fma_f64 v[0:1], v[160:161], s[36:37], v[2:3]
	v_fma_f64 v[2:3], v[162:163], s[20:21], v[10:11]
	;; [unrolled: 1-line block ×7, first 2 shown]
	v_add_f64 v[10:11], v[10:11], v[12:13]
	v_add_f64 v[226:227], v[70:71], v[226:227]
	v_mul_f64 v[12:13], v[148:149], s[48:49]
	v_add_f64 v[8:9], v[8:9], v[10:11]
	v_add_f64 v[90:91], v[90:91], v[226:227]
	v_fma_f64 v[14:15], v[138:139], s[36:37], v[12:13]
	v_mul_f64 v[226:227], v[216:217], s[48:49]
	v_add_f64 v[6:7], v[6:7], v[8:9]
	v_add_f64 v[88:89], v[88:89], v[90:91]
	v_mul_f64 v[8:9], v[146:147], s[40:41]
	v_fma_f64 v[228:229], v[166:167], s[36:37], -v[226:227]
	v_add_f64 v[4:5], v[4:5], v[6:7]
	v_add_f64 v[18:19], v[18:19], v[88:89]
	v_fma_f64 v[10:11], v[136:137], s[24:25], v[8:9]
	v_add_f64 v[228:229], v[228:229], v[232:233]
	v_add_f64 v[2:3], v[2:3], v[4:5]
	v_mul_f64 v[4:5], v[126:127], s[26:27]
	v_add_f64 v[14:15], v[14:15], v[18:19]
	v_mul_f64 v[18:19], v[214:215], s[40:41]
	;; [unrolled: 2-line block ×3, first 2 shown]
	v_fma_f64 v[6:7], v[134:135], s[14:15], v[4:5]
	v_add_f64 v[10:11], v[10:11], v[14:15]
	v_fma_f64 v[88:89], v[164:165], s[24:25], -v[18:19]
	v_fma_f64 v[4:5], v[134:135], s[14:15], -v[4:5]
	v_fma_f64 v[2:3], v[132:133], s[0:1], v[0:1]
	v_fma_f64 v[0:1], v[132:133], s[0:1], -v[0:1]
	v_add_f64 v[6:7], v[6:7], v[10:11]
	v_mul_f64 v[10:11], v[212:213], s[26:27]
	v_add_f64 v[88:89], v[88:89], v[228:229]
	v_add_f64 v[90:91], v[2:3], v[6:7]
	v_mul_f64 v[2:3], v[210:211], s[18:19]
	v_fma_f64 v[14:15], v[162:163], s[14:15], -v[10:11]
	v_fma_f64 v[6:7], v[160:161], s[0:1], -v[2:3]
	v_add_f64 v[14:15], v[14:15], v[88:89]
	v_add_f64 v[88:89], v[6:7], v[14:15]
	v_fma_f64 v[14:15], v[142:143], s[30:31], -v[128:129]
	v_fma_f64 v[128:129], v[158:159], s[4:5], -v[156:157]
	;; [unrolled: 1-line block ×6, first 2 shown]
	v_mul_f64 v[156:157], v[218:219], s[22:23]
	v_mul_f64 v[218:219], v[224:225], s[2:3]
	v_add_f64 v[128:129], v[70:71], v[128:129]
	v_add_f64 v[16:17], v[16:17], v[128:129]
	;; [unrolled: 1-line block ×3, first 2 shown]
	v_mul_f64 v[16:17], v[150:151], s[22:23]
	v_mul_f64 v[150:151], v[208:209], s[2:3]
	v_fma_f64 v[208:209], v[200:201], s[20:21], -v[156:157]
	v_add_f64 v[12:13], v[12:13], v[14:15]
	v_fma_f64 v[14:15], v[206:207], s[4:5], v[245:246]
	v_add_f64 v[8:9], v[8:9], v[12:13]
	v_fma_f64 v[12:13], v[204:205], s[20:21], v[241:242]
	v_add_f64 v[14:15], v[68:69], v[14:15]
	v_add_f64 v[6:7], v[6:7], v[8:9]
	v_fma_f64 v[8:9], v[200:201], s[44:45], v[230:231]
	v_add_f64 v[12:13], v[12:13], v[14:15]
	;; [unrolled: 3-line block ×3, first 2 shown]
	v_fma_f64 v[0:1], v[160:161], s[0:1], v[2:3]
	v_fma_f64 v[2:3], v[162:163], s[14:15], v[10:11]
	;; [unrolled: 1-line block ×5, first 2 shown]
	v_add_f64 v[10:11], v[10:11], v[12:13]
	v_mul_f64 v[12:13], v[148:149], s[28:29]
	v_mul_f64 v[148:149], v[154:155], s[12:13]
	v_add_f64 v[8:9], v[8:9], v[10:11]
	v_fma_f64 v[14:15], v[138:139], s[24:25], v[12:13]
	v_add_f64 v[6:7], v[6:7], v[8:9]
	v_mul_f64 v[8:9], v[146:147], s[34:35]
	v_mul_f64 v[146:147], v[152:153], s[16:17]
	v_fma_f64 v[152:153], v[158:159], s[0:1], v[150:151]
	v_add_f64 v[4:5], v[4:5], v[6:7]
	v_fma_f64 v[10:11], v[136:137], s[30:31], v[8:9]
	v_add_f64 v[152:153], v[70:71], v[152:153]
	v_add_f64 v[2:3], v[2:3], v[4:5]
	v_mul_f64 v[4:5], v[126:127], s[42:43]
	v_fma_f64 v[126:127], v[144:145], s[4:5], v[148:149]
	v_add_f64 v[128:129], v[0:1], v[2:3]
	v_mul_f64 v[0:1], v[124:125], s[46:47]
	v_fma_f64 v[124:125], v[142:143], s[14:15], v[146:147]
	v_add_f64 v[126:127], v[126:127], v[152:153]
	v_fma_f64 v[6:7], v[134:135], s[36:37], v[4:5]
	v_mul_f64 v[152:153], v[216:217], s[28:29]
	v_fma_f64 v[4:5], v[134:135], s[36:37], -v[4:5]
	v_fma_f64 v[2:3], v[132:133], s[44:45], v[0:1]
	v_fma_f64 v[0:1], v[132:133], s[44:45], -v[0:1]
	v_add_f64 v[124:125], v[124:125], v[126:127]
	v_fma_f64 v[132:133], v[158:159], s[0:1], -v[150:151]
	v_fma_f64 v[154:155], v[166:167], s[24:25], -v[152:153]
	v_add_f64 v[18:19], v[18:19], v[124:125]
	v_add_f64 v[132:133], v[70:71], v[132:133]
	;; [unrolled: 1-line block ×3, first 2 shown]
	v_mul_f64 v[18:19], v[214:215], s[34:35]
	v_mul_f64 v[214:215], v[222:223], s[12:13]
	v_add_f64 v[10:11], v[10:11], v[14:15]
	v_fma_f64 v[124:125], v[164:165], s[30:31], -v[18:19]
	v_fma_f64 v[216:217], v[204:205], s[4:5], -v[214:215]
	v_add_f64 v[6:7], v[6:7], v[10:11]
	v_mul_f64 v[10:11], v[212:213], s[42:43]
	v_add_f64 v[126:127], v[2:3], v[6:7]
	v_mul_f64 v[2:3], v[210:211], s[46:47]
	v_mul_f64 v[210:211], v[220:221], s[16:17]
	v_fma_f64 v[220:221], v[206:207], s[0:1], -v[218:219]
	v_fma_f64 v[14:15], v[162:163], s[36:37], -v[10:11]
	;; [unrolled: 1-line block ×4, first 2 shown]
	v_add_f64 v[220:221], v[68:69], v[220:221]
	v_add_f64 v[216:217], v[216:217], v[220:221]
	;; [unrolled: 1-line block ×8, first 2 shown]
	v_fma_f64 v[6:7], v[136:137], s[30:31], -v[8:9]
	v_fma_f64 v[8:9], v[138:139], s[24:25], -v[12:13]
	;; [unrolled: 1-line block ×5, first 2 shown]
	v_add_f64 v[16:17], v[16:17], v[132:133]
	v_add_f64 v[14:15], v[14:15], v[16:17]
	;; [unrolled: 1-line block ×3, first 2 shown]
	v_fma_f64 v[14:15], v[206:207], s[0:1], v[218:219]
	v_add_f64 v[8:9], v[8:9], v[12:13]
	v_fma_f64 v[12:13], v[204:205], s[4:5], v[214:215]
	v_add_f64 v[14:15], v[68:69], v[14:15]
	v_add_f64 v[6:7], v[6:7], v[8:9]
	v_fma_f64 v[8:9], v[200:201], s[20:21], v[156:157]
	v_add_f64 v[12:13], v[12:13], v[14:15]
	v_add_f64 v[4:5], v[4:5], v[6:7]
	v_fma_f64 v[6:7], v[166:167], s[24:25], v[152:153]
	v_add_f64 v[134:135], v[0:1], v[4:5]
	v_fma_f64 v[0:1], v[160:161], s[44:45], v[2:3]
	v_fma_f64 v[2:3], v[162:163], s[36:37], v[10:11]
	;; [unrolled: 1-line block ×4, first 2 shown]
	v_add_f64 v[10:11], v[10:11], v[12:13]
	v_add_f64 v[8:9], v[8:9], v[10:11]
	;; [unrolled: 1-line block ×38, first 2 shown]
	buffer_load_dword v0, off, s[60:63], 0 offset:1236 ; 4-byte Folded Reload
	s_waitcnt vmcnt(0)
	v_lshlrev_b32_e32 v0, 4, v0
	ds_write_b128 v0, v[48:51]
	ds_write_b128 v0, v[132:135] offset:16
	ds_write_b128 v0, v[128:131] offset:32
	;; [unrolled: 1-line block ×6, first 2 shown]
	s_clause 0x3
	buffer_load_dword v1, off, s[60:63], 0 offset:1288
	buffer_load_dword v2, off, s[60:63], 0 offset:1292
	buffer_load_dword v3, off, s[60:63], 0 offset:1296
	buffer_load_dword v4, off, s[60:63], 0 offset:1300
	s_waitcnt vmcnt(0)
	ds_write_b128 v0, v[1:4] offset:112
	s_clause 0x3
	buffer_load_dword v1, off, s[60:63], 0 offset:1256
	buffer_load_dword v2, off, s[60:63], 0 offset:1260
	buffer_load_dword v3, off, s[60:63], 0 offset:1264
	buffer_load_dword v4, off, s[60:63], 0 offset:1268
	s_waitcnt vmcnt(0)
	ds_write_b128 v0, v[1:4] offset:128
	;; [unrolled: 7-line block ×4, first 2 shown]
	ds_write_b128 v0, v[100:103] offset:176
	ds_write_b128 v0, v[104:107] offset:192
	;; [unrolled: 1-line block ×6, first 2 shown]
.LBB0_13:
	s_or_b32 exec_lo, exec_lo, s33
	s_waitcnt lgkmcnt(0)
	s_waitcnt_vscnt null, 0x0
	s_barrier
	buffer_gl0_inv
	ds_read_b128 v[52:55], v238 offset:7344
	ds_read_b128 v[48:51], v238 offset:6528
	s_clause 0x3
	buffer_load_dword v4, off, s[60:63], 0 offset:756
	buffer_load_dword v5, off, s[60:63], 0 offset:760
	;; [unrolled: 1-line block ×4, first 2 shown]
	s_mov_b32 s0, 0xe8584caa
	s_mov_b32 s1, 0xbfebb67a
	;; [unrolled: 1-line block ×22, first 2 shown]
	s_waitcnt vmcnt(0) lgkmcnt(1)
	v_mul_f64 v[0:1], v[6:7], v[54:55]
	v_mul_f64 v[2:3], v[6:7], v[52:53]
	v_fma_f64 v[0:1], v[4:5], v[52:53], v[0:1]
	v_fma_f64 v[2:3], v[4:5], v[54:55], -v[2:3]
	ds_read_b128 v[52:55], v238 offset:14688
	ds_read_b128 v[56:59], v238 offset:15504
	s_clause 0x3
	buffer_load_dword v8, off, s[60:63], 0 offset:740
	buffer_load_dword v9, off, s[60:63], 0 offset:744
	;; [unrolled: 1-line block ×4, first 2 shown]
	s_waitcnt vmcnt(0) lgkmcnt(1)
	v_mul_f64 v[4:5], v[10:11], v[54:55]
	v_mul_f64 v[6:7], v[10:11], v[52:53]
	v_fma_f64 v[4:5], v[8:9], v[52:53], v[4:5]
	v_fma_f64 v[6:7], v[8:9], v[54:55], -v[6:7]
	ds_read_b128 v[52:55], v238 offset:8160
	ds_read_b128 v[60:63], v238 offset:8976
	s_clause 0xb
	buffer_load_dword v12, off, s[60:63], 0 offset:20
	buffer_load_dword v13, off, s[60:63], 0 offset:24
	buffer_load_dword v14, off, s[60:63], 0 offset:28
	buffer_load_dword v15, off, s[60:63], 0 offset:32
	buffer_load_dword v16, off, s[60:63], 0 offset:4
	buffer_load_dword v17, off, s[60:63], 0 offset:8
	buffer_load_dword v18, off, s[60:63], 0 offset:12
	buffer_load_dword v19, off, s[60:63], 0 offset:16
	buffer_load_dword v20, off, s[60:63], 0 offset:724
	buffer_load_dword v21, off, s[60:63], 0 offset:728
	buffer_load_dword v22, off, s[60:63], 0 offset:732
	buffer_load_dword v23, off, s[60:63], 0 offset:736
	s_waitcnt vmcnt(8) lgkmcnt(1)
	v_mul_f64 v[8:9], v[14:15], v[54:55]
	v_mul_f64 v[10:11], v[14:15], v[52:53]
	s_waitcnt vmcnt(4)
	v_mul_f64 v[14:15], v[18:19], v[56:57]
	v_fma_f64 v[8:9], v[12:13], v[52:53], v[8:9]
	v_fma_f64 v[10:11], v[12:13], v[54:55], -v[10:11]
	v_mul_f64 v[12:13], v[18:19], v[58:59]
	v_fma_f64 v[14:15], v[16:17], v[58:59], -v[14:15]
	s_waitcnt vmcnt(0) lgkmcnt(0)
	v_mul_f64 v[18:19], v[22:23], v[60:61]
	v_fma_f64 v[12:13], v[16:17], v[56:57], v[12:13]
	v_mul_f64 v[16:17], v[22:23], v[62:63]
	v_fma_f64 v[18:19], v[20:21], v[62:63], -v[18:19]
	ds_read_b128 v[52:55], v238 offset:16320
	ds_read_b128 v[56:59], v238 offset:17136
	v_fma_f64 v[16:17], v[20:21], v[60:61], v[16:17]
	s_clause 0x3
	buffer_load_dword v20, off, s[60:63], 0 offset:708
	buffer_load_dword v21, off, s[60:63], 0 offset:712
	;; [unrolled: 1-line block ×4, first 2 shown]
	s_waitcnt vmcnt(0) lgkmcnt(1)
	v_mul_f64 v[60:61], v[22:23], v[54:55]
	v_fma_f64 v[92:93], v[20:21], v[52:53], v[60:61]
	v_mul_f64 v[52:53], v[22:23], v[52:53]
	v_fma_f64 v[94:95], v[20:21], v[54:55], -v[52:53]
	ds_read_b128 v[52:55], v238 offset:9792
	ds_read_b128 v[60:63], v238 offset:10608
	s_clause 0x3
	buffer_load_dword v20, off, s[60:63], 0 offset:212
	buffer_load_dword v21, off, s[60:63], 0 offset:216
	;; [unrolled: 1-line block ×4, first 2 shown]
	s_waitcnt vmcnt(0) lgkmcnt(1)
	v_mul_f64 v[64:65], v[22:23], v[54:55]
	v_fma_f64 v[96:97], v[20:21], v[52:53], v[64:65]
	v_mul_f64 v[52:53], v[22:23], v[52:53]
	v_fma_f64 v[98:99], v[20:21], v[54:55], -v[52:53]
	s_clause 0x3
	buffer_load_dword v20, off, s[60:63], 0 offset:196
	buffer_load_dword v21, off, s[60:63], 0 offset:200
	;; [unrolled: 1-line block ×4, first 2 shown]
	s_waitcnt vmcnt(0)
	v_mul_f64 v[52:53], v[22:23], v[58:59]
	v_fma_f64 v[100:101], v[20:21], v[56:57], v[52:53]
	v_mul_f64 v[52:53], v[22:23], v[56:57]
	v_fma_f64 v[102:103], v[20:21], v[58:59], -v[52:53]
	s_clause 0x3
	buffer_load_dword v20, off, s[60:63], 0 offset:180
	buffer_load_dword v21, off, s[60:63], 0 offset:184
	;; [unrolled: 1-line block ×4, first 2 shown]
	s_waitcnt vmcnt(0) lgkmcnt(0)
	v_mul_f64 v[52:53], v[22:23], v[62:63]
	v_fma_f64 v[104:105], v[20:21], v[60:61], v[52:53]
	v_mul_f64 v[52:53], v[22:23], v[60:61]
	v_fma_f64 v[106:107], v[20:21], v[62:63], -v[52:53]
	ds_read_b128 v[52:55], v238 offset:17952
	ds_read_b128 v[56:59], v238 offset:18768
	s_clause 0x3
	buffer_load_dword v20, off, s[60:63], 0 offset:164
	buffer_load_dword v21, off, s[60:63], 0 offset:168
	;; [unrolled: 1-line block ×4, first 2 shown]
	s_waitcnt vmcnt(0) lgkmcnt(1)
	v_mul_f64 v[60:61], v[22:23], v[54:55]
	v_fma_f64 v[108:109], v[20:21], v[52:53], v[60:61]
	v_mul_f64 v[52:53], v[22:23], v[52:53]
	v_fma_f64 v[110:111], v[20:21], v[54:55], -v[52:53]
	ds_read_b128 v[52:55], v238 offset:11424
	ds_read_b128 v[60:63], v238 offset:12240
	s_clause 0x3
	buffer_load_dword v20, off, s[60:63], 0 offset:148
	buffer_load_dword v21, off, s[60:63], 0 offset:152
	;; [unrolled: 1-line block ×4, first 2 shown]
	s_waitcnt vmcnt(0) lgkmcnt(1)
	v_mul_f64 v[64:65], v[22:23], v[54:55]
	v_fma_f64 v[112:113], v[20:21], v[52:53], v[64:65]
	v_mul_f64 v[52:53], v[22:23], v[52:53]
	v_fma_f64 v[114:115], v[20:21], v[54:55], -v[52:53]
	s_clause 0x3
	buffer_load_dword v20, off, s[60:63], 0 offset:100
	buffer_load_dword v21, off, s[60:63], 0 offset:104
	;; [unrolled: 1-line block ×4, first 2 shown]
	s_waitcnt vmcnt(0)
	v_mul_f64 v[52:53], v[22:23], v[58:59]
	v_fma_f64 v[116:117], v[20:21], v[56:57], v[52:53]
	v_mul_f64 v[52:53], v[22:23], v[56:57]
	v_fma_f64 v[118:119], v[20:21], v[58:59], -v[52:53]
	s_clause 0x3
	buffer_load_dword v20, off, s[60:63], 0 offset:132
	buffer_load_dword v21, off, s[60:63], 0 offset:136
	;; [unrolled: 1-line block ×4, first 2 shown]
	s_waitcnt vmcnt(0) lgkmcnt(0)
	v_mul_f64 v[52:53], v[22:23], v[62:63]
	v_fma_f64 v[120:121], v[20:21], v[60:61], v[52:53]
	v_mul_f64 v[52:53], v[22:23], v[60:61]
	v_fma_f64 v[122:123], v[20:21], v[62:63], -v[52:53]
	ds_read_b128 v[52:55], v238 offset:19584
	ds_read_b128 v[56:59], v238 offset:20400
	s_clause 0x3
	buffer_load_dword v20, off, s[60:63], 0 offset:84
	buffer_load_dword v21, off, s[60:63], 0 offset:88
	;; [unrolled: 1-line block ×4, first 2 shown]
	s_waitcnt vmcnt(0) lgkmcnt(1)
	v_mul_f64 v[60:61], v[22:23], v[54:55]
	v_fma_f64 v[124:125], v[20:21], v[52:53], v[60:61]
	v_mul_f64 v[52:53], v[22:23], v[52:53]
	v_fma_f64 v[126:127], v[20:21], v[54:55], -v[52:53]
	ds_read_b128 v[52:55], v238 offset:13056
	ds_read_b128 v[60:63], v238 offset:13872
	s_clause 0x3
	buffer_load_dword v20, off, s[60:63], 0 offset:68
	buffer_load_dword v21, off, s[60:63], 0 offset:72
	;; [unrolled: 1-line block ×4, first 2 shown]
	s_waitcnt vmcnt(0) lgkmcnt(1)
	v_mul_f64 v[64:65], v[22:23], v[54:55]
	v_fma_f64 v[128:129], v[20:21], v[52:53], v[64:65]
	v_mul_f64 v[52:53], v[22:23], v[52:53]
	v_fma_f64 v[130:131], v[20:21], v[54:55], -v[52:53]
	s_clause 0x3
	buffer_load_dword v20, off, s[60:63], 0 offset:52
	buffer_load_dword v21, off, s[60:63], 0 offset:56
	;; [unrolled: 1-line block ×4, first 2 shown]
	s_waitcnt vmcnt(0)
	v_mul_f64 v[52:53], v[22:23], v[58:59]
	v_fma_f64 v[132:133], v[20:21], v[56:57], v[52:53]
	v_mul_f64 v[52:53], v[22:23], v[56:57]
	v_fma_f64 v[134:135], v[20:21], v[58:59], -v[52:53]
	s_clause 0x3
	buffer_load_dword v20, off, s[60:63], 0 offset:36
	buffer_load_dword v21, off, s[60:63], 0 offset:40
	buffer_load_dword v22, off, s[60:63], 0 offset:44
	buffer_load_dword v23, off, s[60:63], 0 offset:48
	s_waitcnt vmcnt(0) lgkmcnt(0)
	v_mul_f64 v[52:53], v[22:23], v[62:63]
	v_fma_f64 v[136:137], v[20:21], v[60:61], v[52:53]
	v_mul_f64 v[52:53], v[22:23], v[60:61]
	v_add_f64 v[60:61], v[0:1], v[4:5]
	v_fma_f64 v[138:139], v[20:21], v[62:63], -v[52:53]
	ds_read_b128 v[52:55], v238 offset:21216
	s_clause 0x3
	buffer_load_dword v20, off, s[60:63], 0 offset:116
	buffer_load_dword v21, off, s[60:63], 0 offset:120
	;; [unrolled: 1-line block ×4, first 2 shown]
	s_waitcnt vmcnt(0) lgkmcnt(0)
	v_mul_f64 v[56:57], v[22:23], v[54:55]
	v_fma_f64 v[140:141], v[20:21], v[52:53], v[56:57]
	v_mul_f64 v[52:53], v[22:23], v[52:53]
	v_fma_f64 v[142:143], v[20:21], v[54:55], -v[52:53]
	ds_read_b128 v[52:55], v238
	ds_read_b128 v[56:59], v238 offset:816
	ds_read_b128 v[68:71], v238 offset:1632
	;; [unrolled: 1-line block ×7, first 2 shown]
	s_waitcnt lgkmcnt(0)
	s_barrier
	buffer_gl0_inv
	v_fma_f64 v[62:63], v[60:61], -0.5, v[52:53]
	v_add_f64 v[60:61], v[2:3], v[6:7]
	v_add_f64 v[52:53], v[52:53], v[0:1]
	v_add_f64 v[0:1], v[0:1], -v[4:5]
	v_fma_f64 v[66:67], v[60:61], -0.5, v[54:55]
	v_add_f64 v[54:55], v[54:55], v[2:3]
	v_add_f64 v[2:3], v[2:3], -v[6:7]
	v_add_f64 v[52:53], v[52:53], v[4:5]
	v_add_f64 v[4:5], v[58:59], v[10:11]
	;; [unrolled: 1-line block ×3, first 2 shown]
	v_fma_f64 v[60:61], v[2:3], s[0:1], v[62:63]
	v_fma_f64 v[64:65], v[2:3], s[2:3], v[62:63]
	v_fma_f64 v[62:63], v[0:1], s[2:3], v[66:67]
	v_fma_f64 v[66:67], v[0:1], s[0:1], v[66:67]
	v_add_f64 v[0:1], v[8:9], v[12:13]
	v_add_f64 v[2:3], v[10:11], v[14:15]
	v_add_f64 v[10:11], v[10:11], -v[14:15]
	ds_write_b128 v236, v[52:55]
	ds_write_b128 v236, v[60:63] offset:272
	ds_write_b128 v236, v[64:67] offset:544
	v_add_f64 v[6:7], v[56:57], v[8:9]
	v_add_f64 v[54:55], v[4:5], v[14:15]
	v_fma_f64 v[0:1], v[0:1], -0.5, v[56:57]
	v_fma_f64 v[2:3], v[2:3], -0.5, v[58:59]
	v_add_f64 v[4:5], v[8:9], -v[12:13]
	v_add_f64 v[8:9], v[18:19], -v[94:95]
	v_add_f64 v[52:53], v[6:7], v[12:13]
	v_add_f64 v[6:7], v[68:69], v[16:17]
	v_fma_f64 v[56:57], v[10:11], s[0:1], v[0:1]
	v_fma_f64 v[60:61], v[10:11], s[2:3], v[0:1]
	buffer_load_dword v0, off, s[60:63], 0 offset:828 ; 4-byte Folded Reload
	v_fma_f64 v[58:59], v[4:5], s[2:3], v[2:3]
	v_fma_f64 v[62:63], v[4:5], s[0:1], v[2:3]
	v_add_f64 v[2:3], v[18:19], v[94:95]
	v_add_f64 v[4:5], v[70:71], v[18:19]
	v_add_f64 v[10:11], v[120:121], -v[124:125]
	s_waitcnt vmcnt(0)
	ds_write_b128 v0, v[52:55]
	ds_write_b128 v0, v[56:59] offset:272
	ds_write_b128 v0, v[60:63] offset:544
	v_add_f64 v[0:1], v[16:17], v[92:93]
	v_fma_f64 v[2:3], v[2:3], -0.5, v[70:71]
	v_add_f64 v[54:55], v[4:5], v[94:95]
	v_add_f64 v[4:5], v[16:17], -v[92:93]
	v_add_f64 v[52:53], v[6:7], v[92:93]
	v_add_f64 v[6:7], v[72:73], v[96:97]
	v_fma_f64 v[0:1], v[0:1], -0.5, v[68:69]
	v_fma_f64 v[58:59], v[4:5], s[2:3], v[2:3]
	v_fma_f64 v[62:63], v[4:5], s[0:1], v[2:3]
	v_add_f64 v[2:3], v[98:99], v[102:103]
	v_add_f64 v[4:5], v[74:75], v[98:99]
	v_fma_f64 v[56:57], v[8:9], s[0:1], v[0:1]
	v_fma_f64 v[60:61], v[8:9], s[2:3], v[0:1]
	buffer_load_dword v0, off, s[60:63], 0 offset:820 ; 4-byte Folded Reload
	v_add_f64 v[8:9], v[98:99], -v[102:103]
	s_waitcnt vmcnt(0)
	ds_write_b128 v0, v[52:55]
	ds_write_b128 v0, v[56:59] offset:272
	ds_write_b128 v0, v[60:63] offset:544
	v_add_f64 v[0:1], v[96:97], v[100:101]
	v_fma_f64 v[2:3], v[2:3], -0.5, v[74:75]
	v_add_f64 v[54:55], v[4:5], v[102:103]
	v_add_f64 v[4:5], v[96:97], -v[100:101]
	v_add_f64 v[52:53], v[6:7], v[100:101]
	v_add_f64 v[6:7], v[76:77], v[104:105]
	v_fma_f64 v[0:1], v[0:1], -0.5, v[72:73]
	v_fma_f64 v[58:59], v[4:5], s[2:3], v[2:3]
	v_fma_f64 v[62:63], v[4:5], s[0:1], v[2:3]
	v_add_f64 v[2:3], v[106:107], v[110:111]
	v_add_f64 v[4:5], v[78:79], v[106:107]
	v_fma_f64 v[56:57], v[8:9], s[0:1], v[0:1]
	v_fma_f64 v[60:61], v[8:9], s[2:3], v[0:1]
	buffer_load_dword v0, off, s[60:63], 0 offset:812 ; 4-byte Folded Reload
	;; [unrolled: 19-line block ×4, first 2 shown]
	v_add_f64 v[8:9], v[122:123], -v[126:127]
	s_waitcnt vmcnt(0)
	ds_write_b128 v0, v[52:55]
	ds_write_b128 v0, v[56:59] offset:272
	ds_write_b128 v0, v[60:63] offset:544
	v_add_f64 v[0:1], v[120:121], v[124:125]
	v_fma_f64 v[2:3], v[2:3], -0.5, v[86:87]
	v_add_f64 v[52:53], v[4:5], v[124:125]
	v_add_f64 v[54:55], v[6:7], v[126:127]
	;; [unrolled: 1-line block ×4, first 2 shown]
	v_fma_f64 v[0:1], v[0:1], -0.5, v[84:85]
	v_fma_f64 v[58:59], v[10:11], s[2:3], v[2:3]
	v_fma_f64 v[62:63], v[10:11], s[0:1], v[2:3]
	v_add_f64 v[2:3], v[130:131], v[134:135]
	v_add_f64 v[10:11], v[128:129], -v[132:133]
	v_add_f64 v[64:65], v[4:5], v[132:133]
	v_add_f64 v[66:67], v[6:7], v[134:135]
	;; [unrolled: 1-line block ×4, first 2 shown]
	v_fma_f64 v[56:57], v[8:9], s[0:1], v[0:1]
	v_fma_f64 v[60:61], v[8:9], s[2:3], v[0:1]
	v_add_f64 v[0:1], v[128:129], v[132:133]
	v_add_f64 v[8:9], v[130:131], -v[134:135]
	v_fma_f64 v[2:3], v[2:3], -0.5, v[90:91]
	v_fma_f64 v[0:1], v[0:1], -0.5, v[88:89]
	v_fma_f64 v[70:71], v[10:11], s[2:3], v[2:3]
	v_fma_f64 v[74:75], v[10:11], s[0:1], v[2:3]
	v_add_f64 v[2:3], v[138:139], v[142:143]
	v_add_f64 v[10:11], v[136:137], -v[140:141]
	v_fma_f64 v[68:69], v[8:9], s[0:1], v[0:1]
	v_fma_f64 v[72:73], v[8:9], s[2:3], v[0:1]
	v_add_f64 v[0:1], v[136:137], v[140:141]
	v_add_f64 v[8:9], v[138:139], -v[142:143]
	v_fma_f64 v[2:3], v[2:3], -0.5, v[50:51]
	v_add_f64 v[50:51], v[6:7], v[142:143]
	v_fma_f64 v[0:1], v[0:1], -0.5, v[48:49]
	v_add_f64 v[48:49], v[4:5], v[140:141]
	v_fma_f64 v[78:79], v[10:11], s[2:3], v[2:3]
	v_fma_f64 v[82:83], v[10:11], s[0:1], v[2:3]
	;; [unrolled: 1-line block ×4, first 2 shown]
	buffer_load_dword v0, off, s[60:63], 0 offset:788 ; 4-byte Folded Reload
	s_waitcnt vmcnt(0)
	ds_write_b128 v0, v[52:55]
	ds_write_b128 v0, v[56:59] offset:272
	ds_write_b128 v0, v[60:63] offset:544
	buffer_load_dword v0, off, s[60:63], 0 offset:780 ; 4-byte Folded Reload
	s_waitcnt vmcnt(0)
	ds_write_b128 v0, v[64:67]
	ds_write_b128 v0, v[68:71] offset:272
	ds_write_b128 v0, v[72:75] offset:544
	;; [unrolled: 5-line block ×3, first 2 shown]
	s_waitcnt lgkmcnt(0)
	s_barrier
	buffer_gl0_inv
	ds_read_b128 v[52:55], v238 offset:2448
	ds_read_b128 v[56:59], v238 offset:4896
	;; [unrolled: 1-line block ×11, first 2 shown]
	s_waitcnt lgkmcnt(10)
	v_mul_f64 v[2:3], v[194:195], v[52:53]
	v_mul_f64 v[0:1], v[194:195], v[54:55]
	s_waitcnt lgkmcnt(9)
	v_mul_f64 v[4:5], v[190:191], v[58:59]
	v_mul_f64 v[6:7], v[190:191], v[56:57]
	;; [unrolled: 3-line block ×3, first 2 shown]
	v_fma_f64 v[54:55], v[192:193], v[54:55], -v[2:3]
	s_waitcnt lgkmcnt(7)
	v_mul_f64 v[2:3], v[190:191], v[70:71]
	v_fma_f64 v[52:53], v[192:193], v[52:53], v[0:1]
	v_mul_f64 v[0:1], v[190:191], v[72:73]
	v_fma_f64 v[56:57], v[188:189], v[56:57], v[4:5]
	s_waitcnt lgkmcnt(5)
	v_mul_f64 v[4:5], v[182:183], v[76:77]
	v_fma_f64 v[58:59], v[188:189], v[58:59], -v[6:7]
	v_fma_f64 v[66:67], v[192:193], v[60:61], v[8:9]
	v_mul_f64 v[6:7], v[182:183], v[74:75]
	v_fma_f64 v[64:65], v[192:193], v[62:63], -v[10:11]
	v_fma_f64 v[68:69], v[188:189], v[72:73], -v[2:3]
	s_waitcnt lgkmcnt(4)
	v_mul_f64 v[2:3], v[182:183], v[78:79]
	v_fma_f64 v[70:71], v[188:189], v[70:71], v[0:1]
	v_mul_f64 v[0:1], v[182:183], v[80:81]
	v_fma_f64 v[60:61], v[180:181], v[74:75], v[4:5]
	v_fma_f64 v[62:63], v[180:181], v[76:77], -v[6:7]
	v_fma_f64 v[72:73], v[180:181], v[80:81], -v[2:3]
	s_waitcnt lgkmcnt(2)
	v_mul_f64 v[2:3], v[174:175], v[88:89]
	v_fma_f64 v[74:75], v[180:181], v[78:79], v[0:1]
	ds_read_b128 v[78:81], v238 offset:10608
	v_mul_f64 v[0:1], v[174:175], v[90:91]
	v_fma_f64 v[128:129], v[172:173], v[90:91], -v[2:3]
	s_waitcnt lgkmcnt(0)
	v_mul_f64 v[2:3], v[174:175], v[78:79]
	v_fma_f64 v[130:131], v[172:173], v[88:89], v[0:1]
	v_mul_f64 v[0:1], v[174:175], v[80:81]
	v_fma_f64 v[76:77], v[172:173], v[80:81], -v[2:3]
	ds_read_b128 v[80:83], v238 offset:12240
	ds_read_b128 v[108:111], v238 offset:11424
	v_fma_f64 v[78:79], v[172:173], v[78:79], v[0:1]
	s_waitcnt lgkmcnt(1)
	v_mul_f64 v[0:1], v[198:199], v[82:83]
	v_fma_f64 v[134:135], v[196:197], v[80:81], v[0:1]
	v_mul_f64 v[0:1], v[198:199], v[80:81]
	v_fma_f64 v[136:137], v[196:197], v[82:83], -v[0:1]
	ds_read_b128 v[80:83], v238 offset:13056
	ds_read_b128 v[116:119], v238 offset:13872
	s_waitcnt lgkmcnt(1)
	v_mul_f64 v[0:1], v[198:199], v[82:83]
	v_fma_f64 v[102:103], v[196:197], v[80:81], v[0:1]
	v_mul_f64 v[0:1], v[198:199], v[80:81]
	v_fma_f64 v[94:95], v[196:197], v[82:83], -v[0:1]
	ds_read_b128 v[80:83], v238 offset:14688
	ds_read_b128 v[88:91], v238 offset:15504
	s_waitcnt lgkmcnt(1)
	v_mul_f64 v[0:1], v[186:187], v[82:83]
	v_fma_f64 v[138:139], v[184:185], v[80:81], v[0:1]
	v_mul_f64 v[0:1], v[186:187], v[80:81]
	v_add_f64 v[144:145], v[60:61], v[138:139]
	v_fma_f64 v[140:141], v[184:185], v[82:83], -v[0:1]
	s_waitcnt lgkmcnt(0)
	v_mul_f64 v[0:1], v[186:187], v[90:91]
	ds_read_b128 v[80:83], v238 offset:17136
	ds_read_b128 v[152:155], v238 offset:16320
	v_add_f64 v[18:19], v[60:61], -v[138:139]
	v_add_f64 v[60:61], v[128:129], v[136:137]
	v_add_f64 v[8:9], v[62:63], v[140:141]
	v_fma_f64 v[112:113], v[184:185], v[88:89], v[0:1]
	v_mul_f64 v[0:1], v[186:187], v[88:89]
	v_fma_f64 v[114:115], v[184:185], v[90:91], -v[0:1]
	s_waitcnt lgkmcnt(1)
	v_mul_f64 v[0:1], v[178:179], v[82:83]
	v_fma_f64 v[142:143], v[176:177], v[80:81], v[0:1]
	v_mul_f64 v[0:1], v[178:179], v[80:81]
	v_add_f64 v[14:15], v[56:57], -v[142:143]
	v_fma_f64 v[146:147], v[176:177], v[82:83], -v[0:1]
	ds_read_b128 v[80:83], v238 offset:17952
	ds_read_b128 v[156:159], v238 offset:18768
	s_waitcnt lgkmcnt(1)
	v_mul_f64 v[0:1], v[178:179], v[82:83]
	v_add_f64 v[6:7], v[58:59], v[146:147]
	v_add_f64 v[16:17], v[58:59], -v[146:147]
	v_add_f64 v[58:59], v[128:129], -v[136:137]
	v_fma_f64 v[120:121], v[176:177], v[80:81], v[0:1]
	v_mul_f64 v[0:1], v[178:179], v[80:81]
	v_fma_f64 v[122:123], v[176:177], v[82:83], -v[0:1]
	ds_read_b128 v[80:83], v238 offset:19584
	ds_read_b128 v[88:91], v238 offset:20400
	s_clause 0x3
	buffer_load_dword v2, off, s[60:63], 0 offset:884
	buffer_load_dword v3, off, s[60:63], 0 offset:888
	;; [unrolled: 1-line block ×4, first 2 shown]
	s_waitcnt lgkmcnt(1)
	v_mul_f64 v[0:1], v[170:171], v[82:83]
	v_fma_f64 v[148:149], v[168:169], v[80:81], v[0:1]
	v_mul_f64 v[0:1], v[170:171], v[80:81]
	v_add_f64 v[132:133], v[52:53], v[148:149]
	v_fma_f64 v[150:151], v[168:169], v[82:83], -v[0:1]
	s_waitcnt lgkmcnt(0)
	v_mul_f64 v[0:1], v[170:171], v[90:91]
	v_fma_f64 v[124:125], v[168:169], v[88:89], v[0:1]
	v_mul_f64 v[0:1], v[170:171], v[88:89]
	v_fma_f64 v[126:127], v[168:169], v[90:91], -v[0:1]
	s_waitcnt vmcnt(0)
	v_mul_f64 v[0:1], v[4:5], v[86:87]
	v_fma_f64 v[82:83], v[2:3], v[84:85], v[0:1]
	v_mul_f64 v[0:1], v[4:5], v[84:85]
	v_fma_f64 v[84:85], v[2:3], v[86:87], -v[0:1]
	s_clause 0x3
	buffer_load_dword v2, off, s[60:63], 0 offset:868
	buffer_load_dword v3, off, s[60:63], 0 offset:872
	buffer_load_dword v4, off, s[60:63], 0 offset:876
	buffer_load_dword v5, off, s[60:63], 0 offset:880
	s_waitcnt vmcnt(0)
	v_mul_f64 v[0:1], v[4:5], v[98:99]
	v_fma_f64 v[90:91], v[2:3], v[96:97], v[0:1]
	v_mul_f64 v[0:1], v[4:5], v[96:97]
	v_fma_f64 v[92:93], v[2:3], v[98:99], -v[0:1]
	s_clause 0x3
	buffer_load_dword v2, off, s[60:63], 0 offset:852
	buffer_load_dword v3, off, s[60:63], 0 offset:856
	buffer_load_dword v4, off, s[60:63], 0 offset:860
	buffer_load_dword v5, off, s[60:63], 0 offset:864
	;; [unrolled: 10-line block ×6, first 2 shown]
	ds_read_b128 v[152:155], v238 offset:21216
	s_waitcnt vmcnt(0)
	v_mul_f64 v[0:1], v[4:5], v[158:159]
	v_fma_f64 v[108:109], v[2:3], v[156:157], v[0:1]
	v_mul_f64 v[0:1], v[4:5], v[156:157]
	v_fma_f64 v[110:111], v[2:3], v[158:159], -v[0:1]
	s_clause 0x3
	buffer_load_dword v2, off, s[60:63], 0 offset:948
	buffer_load_dword v3, off, s[60:63], 0 offset:952
	;; [unrolled: 1-line block ×4, first 2 shown]
	s_waitcnt vmcnt(0) lgkmcnt(0)
	v_mul_f64 v[0:1], v[4:5], v[154:155]
	v_fma_f64 v[116:117], v[2:3], v[152:153], v[0:1]
	v_mul_f64 v[0:1], v[4:5], v[152:153]
	v_add_f64 v[152:153], v[56:57], v[142:143]
	v_add_f64 v[4:5], v[54:55], v[150:151]
	;; [unrolled: 1-line block ×3, first 2 shown]
	v_fma_f64 v[118:119], v[2:3], v[154:155], -v[0:1]
	v_add_f64 v[0:1], v[152:153], v[132:133]
	v_add_f64 v[10:11], v[6:7], v[4:5]
	ds_read_b128 v[154:157], v238
	ds_read_b128 v[158:161], v238 offset:816
	s_waitcnt lgkmcnt(0)
	s_barrier
	buffer_gl0_inv
	v_add_f64 v[138:139], v[154:155], v[144:145]
	v_add_f64 v[2:3], v[144:145], v[0:1]
	;; [unrolled: 1-line block ×8, first 2 shown]
	v_fma_f64 v[0:1], v[0:1], -0.5, v[138:139]
	v_fma_f64 v[10:11], v[10:11], -0.5, v[146:147]
	v_add_f64 v[2:3], v[134:135], v[2:3]
	v_add_f64 v[12:13], v[136:137], v[12:13]
	v_fma_f64 v[136:137], v[152:153], s[24:25], v[154:155]
	v_add_f64 v[162:163], v[154:155], v[2:3]
	v_add_f64 v[2:3], v[52:53], -v[148:149]
	v_add_f64 v[164:165], v[156:157], v[12:13]
	v_add_f64 v[12:13], v[54:55], -v[150:151]
	v_add_f64 v[52:53], v[62:63], -v[140:141]
	v_add_f64 v[54:55], v[130:131], -v[134:135]
	v_fma_f64 v[134:135], v[4:5], s[24:25], v[156:157]
	v_fma_f64 v[130:131], v[132:133], s[24:25], v[154:155]
	v_mul_f64 v[62:63], v[2:3], s[16:17]
	ds_write_b128 v238, v[162:165]
	v_mul_f64 v[128:129], v[12:13], s[16:17]
	v_mul_f64 v[148:149], v[54:55], s[26:27]
	v_fma_f64 v[134:135], v[6:7], s[22:23], v[134:135]
	v_fma_f64 v[130:131], v[152:153], s[22:23], v[130:131]
	v_add_f64 v[150:151], v[54:55], v[2:3]
	v_fma_f64 v[62:63], v[14:15], s[12:13], v[62:63]
	v_fma_f64 v[128:129], v[16:17], s[12:13], v[128:129]
	;; [unrolled: 1-line block ×3, first 2 shown]
	v_fma_f64 v[134:135], v[8:9], -0.5, v[134:135]
	v_fma_f64 v[130:131], v[144:145], -0.5, v[130:131]
	v_add_f64 v[150:151], v[150:151], -v[14:15]
	v_fma_f64 v[62:63], v[18:19], s[4:5], v[62:63]
	v_fma_f64 v[128:129], v[52:53], s[4:5], v[128:129]
	;; [unrolled: 1-line block ×6, first 2 shown]
	v_mul_f64 v[54:55], v[54:55], s[12:13]
	v_fma_f64 v[128:129], v[58:59], s[18:19], v[128:129]
	v_fma_f64 v[148:149], v[14:15], s[18:19], v[148:149]
	v_add_f64 v[142:143], v[62:63], v[134:135]
	v_fma_f64 v[134:135], v[60:61], s[24:25], v[156:157]
	v_add_f64 v[140:141], v[130:131], -v[128:129]
	v_fma_f64 v[130:131], v[56:57], s[24:25], v[154:155]
	v_fma_f64 v[14:15], v[14:15], s[26:27], -v[54:55]
	v_fma_f64 v[54:55], v[56:57], s[22:23], v[136:137]
	v_mul_f64 v[56:57], v[58:59], s[26:27]
	v_fma_f64 v[134:135], v[4:5], s[22:23], v[134:135]
	v_fma_f64 v[130:131], v[132:133], s[22:23], v[130:131]
	;; [unrolled: 1-line block ×3, first 2 shown]
	v_fma_f64 v[138:139], v[144:145], -0.5, v[54:55]
	v_fma_f64 v[56:57], v[12:13], s[12:13], v[56:57]
	v_fma_f64 v[54:55], v[62:63], -2.0, v[142:143]
	v_fma_f64 v[134:135], v[8:9], -0.5, v[134:135]
	;; [unrolled: 1-line block ×3, first 2 shown]
	v_fma_f64 v[56:57], v[52:53], s[20:21], v[56:57]
	v_fma_f64 v[134:135], v[6:7], s[14:15], v[134:135]
	;; [unrolled: 1-line block ×5, first 2 shown]
	v_add_f64 v[62:63], v[148:149], v[134:135]
	v_fma_f64 v[6:7], v[60:61], s[22:23], v[6:7]
	v_mul_f64 v[60:61], v[58:59], s[12:13]
	v_add_f64 v[58:59], v[58:59], v[12:13]
	v_fma_f64 v[6:7], v[8:9], -0.5, v[6:7]
	v_fma_f64 v[60:61], v[16:17], s[26:27], -v[60:61]
	v_add_f64 v[16:17], v[58:59], -v[16:17]
	v_fma_f64 v[58:59], v[150:151], s[4:5], v[10:11]
	v_add_f64 v[10:11], v[66:67], -v[124:125]
	v_fma_f64 v[8:9], v[132:133], s[14:15], v[138:139]
	v_fma_f64 v[4:5], v[4:5], s[14:15], v[6:7]
	;; [unrolled: 1-line block ×5, first 2 shown]
	v_add_f64 v[6:7], v[66:67], v[124:125]
	v_add_f64 v[14:15], v[64:65], -v[126:127]
	v_fma_f64 v[52:53], v[128:129], 2.0, v[140:141]
	v_add_f64 v[60:61], v[130:131], -v[136:137]
	v_mul_f64 v[16:17], v[16:17], s[4:5]
	v_fma_f64 v[2:3], v[12:13], s[18:19], v[18:19]
	v_add_f64 v[18:19], v[70:71], v[120:121]
	v_add_f64 v[12:13], v[64:65], v[126:127]
	v_add_f64 v[64:65], v[70:71], -v[120:121]
	v_add_f64 v[120:121], v[74:75], v[112:113]
	v_add_f64 v[74:75], v[74:75], -v[112:113]
	;; [unrolled: 2-line block ×4, first 2 shown]
	v_add_f64 v[122:123], v[78:79], -v[102:103]
	v_add_f64 v[126:127], v[76:77], -v[94:95]
	v_fma_f64 v[134:135], v[6:7], s[24:25], v[158:159]
	v_fma_f64 v[136:137], v[136:137], 2.0, v[60:61]
	v_add_f64 v[114:115], v[18:19], v[6:7]
	v_fma_f64 v[138:139], v[12:13], s[24:25], v[160:161]
	v_add_f64 v[146:147], v[160:161], v[112:113]
	v_mul_f64 v[128:129], v[122:123], s[26:27]
	v_add_f64 v[130:131], v[122:123], v[10:11]
	v_fma_f64 v[134:135], v[18:19], s[22:23], v[134:135]
	v_add_f64 v[66:67], v[120:121], v[114:115]
	v_fma_f64 v[138:139], v[70:71], s[22:23], v[138:139]
	v_fma_f64 v[128:129], v[10:11], s[12:13], v[128:129]
	v_add_f64 v[130:131], v[130:131], -v[64:65]
	v_add_f64 v[66:67], v[78:79], v[66:67]
	v_add_f64 v[78:79], v[78:79], v[102:103]
	v_fma_f64 v[128:129], v[74:75], s[20:21], v[128:129]
	v_add_f64 v[66:67], v[102:103], v[66:67]
	v_add_f64 v[102:103], v[70:71], v[12:13]
	;; [unrolled: 1-line block ×3, first 2 shown]
	v_fma_f64 v[128:129], v[64:65], s[18:19], v[128:129]
	v_add_f64 v[124:125], v[112:113], v[102:103]
	v_add_f64 v[124:125], v[76:77], v[124:125]
	;; [unrolled: 1-line block ×4, first 2 shown]
	v_mul_f64 v[124:125], v[10:11], s[16:17]
	v_fma_f64 v[132:133], v[76:77], s[24:25], v[160:161]
	v_add_f64 v[102:103], v[76:77], v[102:103]
	v_fma_f64 v[124:125], v[64:65], s[12:13], v[124:125]
	v_fma_f64 v[132:133], v[12:13], s[22:23], v[132:133]
	v_fma_f64 v[102:103], v[102:103], -0.5, v[146:147]
	v_fma_f64 v[124:125], v[74:75], s[4:5], v[124:125]
	v_fma_f64 v[132:133], v[112:113], -0.5, v[132:133]
	v_fma_f64 v[124:125], v[122:123], s[18:19], v[124:125]
	v_mul_f64 v[122:123], v[122:123], s[12:13]
	v_fma_f64 v[144:145], v[70:71], s[14:15], v[132:133]
	v_fma_f64 v[70:71], v[70:71], s[24:25], v[160:161]
	v_add_f64 v[132:133], v[158:159], v[120:121]
	v_fma_f64 v[122:123], v[64:65], s[26:27], -v[122:123]
	v_add_f64 v[64:65], v[158:159], v[66:67]
	v_add_f64 v[66:67], v[160:161], v[94:95]
	v_fma_f64 v[94:95], v[78:79], s[24:25], v[158:159]
	v_fma_f64 v[70:71], v[76:77], s[22:23], v[70:71]
	;; [unrolled: 1-line block ×3, first 2 shown]
	v_fma_f64 v[122:123], v[120:121], -0.5, v[134:135]
	v_mul_f64 v[134:135], v[126:127], s[26:27]
	v_fma_f64 v[94:95], v[6:7], s[22:23], v[94:95]
	v_fma_f64 v[70:71], v[112:113], -0.5, v[70:71]
	v_fma_f64 v[10:11], v[10:11], s[18:19], v[74:75]
	v_fma_f64 v[122:123], v[78:79], s[14:15], v[122:123]
	;; [unrolled: 1-line block ×3, first 2 shown]
	v_fma_f64 v[94:95], v[120:121], -0.5, v[94:95]
	v_add_f64 v[74:75], v[84:85], v[118:119]
	v_fma_f64 v[12:13], v[12:13], s[14:15], v[70:71]
	v_fma_f64 v[134:135], v[72:73], s[20:21], v[134:135]
	;; [unrolled: 1-line block ×5, first 2 shown]
	v_fma_f64 v[78:79], v[112:113], -0.5, v[138:139]
	v_mul_f64 v[138:139], v[126:127], s[12:13]
	v_fma_f64 v[18:19], v[120:121], -0.5, v[18:19]
	v_fma_f64 v[78:79], v[76:77], s[14:15], v[78:79]
	v_mul_f64 v[76:77], v[14:15], s[16:17]
	v_fma_f64 v[138:139], v[68:69], s[26:27], -v[138:139]
	v_fma_f64 v[120:121], v[74:75], s[24:25], v[50:51]
	v_fma_f64 v[6:7], v[6:7], s[14:15], v[18:19]
	v_add_f64 v[18:19], v[82:83], v[116:117]
	v_fma_f64 v[76:77], v[68:69], s[12:13], v[76:77]
	v_fma_f64 v[76:77], v[72:73], s[4:5], v[76:77]
	;; [unrolled: 1-line block ×3, first 2 shown]
	v_fma_f64 v[138:139], v[114:115], -0.5, v[132:133]
	v_add_f64 v[114:115], v[80:81], -v[88:89]
	v_add_f64 v[132:133], v[8:9], -v[2:3]
	v_fma_f64 v[152:153], v[126:127], s[18:19], v[76:77]
	v_add_f64 v[76:77], v[126:127], v[14:15]
	v_fma_f64 v[14:15], v[14:15], s[18:19], v[72:73]
	v_add_f64 v[72:73], v[82:83], -v[116:117]
	v_add_f64 v[82:83], v[84:85], -v[118:119]
	v_add_f64 v[84:85], v[90:91], v[108:109]
	v_fma_f64 v[126:127], v[68:69], s[18:19], v[134:135]
	v_fma_f64 v[118:119], v[18:19], s[24:25], v[48:49]
	v_add_f64 v[134:135], v[0:1], v[4:5]
	v_mul_f64 v[4:5], v[130:131], s[4:5]
	v_add_f64 v[76:77], v[76:77], -v[68:69]
	v_add_f64 v[68:69], v[90:91], -v[108:109]
	v_add_f64 v[108:109], v[96:97], v[104:105]
	v_add_f64 v[96:97], v[96:97], -v[104:105]
	v_add_f64 v[104:105], v[98:99], v[106:107]
	;; [unrolled: 2-line block ×3, first 2 shown]
	v_add_f64 v[90:91], v[92:93], v[110:111]
	v_add_f64 v[92:93], v[92:93], -v[110:111]
	v_add_f64 v[110:111], v[86:87], -v[100:101]
	v_fma_f64 v[118:119], v[84:85], s[22:23], v[118:119]
	v_mul_f64 v[8:9], v[76:77], s[4:5]
	v_add_f64 v[70:71], v[108:109], v[106:107]
	v_fma_f64 v[120:121], v[90:91], s[22:23], v[120:121]
	v_mul_f64 v[116:117], v[110:111], s[26:27]
	v_add_f64 v[70:71], v[86:87], v[70:71]
	v_add_f64 v[86:87], v[86:87], v[100:101]
	v_fma_f64 v[116:117], v[72:73], s[12:13], v[116:117]
	v_add_f64 v[70:71], v[100:101], v[70:71]
	v_add_f64 v[100:101], v[90:91], v[74:75]
	;; [unrolled: 1-line block ×7, first 2 shown]
	v_mul_f64 v[112:113], v[72:73], s[16:17]
	v_add_f64 v[100:101], v[80:81], v[100:101]
	v_fma_f64 v[112:113], v[68:69], s[12:13], v[112:113]
	v_fma_f64 v[112:113], v[96:97], s[4:5], v[112:113]
	;; [unrolled: 1-line block ×4, first 2 shown]
	v_add_f64 v[116:117], v[110:111], v[72:73]
	v_mul_f64 v[110:111], v[110:111], s[12:13]
	v_fma_f64 v[156:157], v[68:69], s[18:19], v[112:113]
	v_add_f64 v[116:117], v[116:117], -v[68:69]
	v_fma_f64 v[110:111], v[68:69], s[26:27], -v[110:111]
	v_add_f64 v[68:69], v[48:49], v[70:71]
	v_add_f64 v[70:71], v[50:51], v[88:89]
	v_fma_f64 v[88:89], v[86:87], s[24:25], v[48:49]
	v_fma_f64 v[112:113], v[80:81], s[24:25], v[50:51]
	v_fma_f64 v[88:89], v[18:19], s[22:23], v[88:89]
	v_fma_f64 v[112:113], v[74:75], s[22:23], v[112:113]
	v_fma_f64 v[88:89], v[108:109], -0.5, v[88:89]
	v_fma_f64 v[112:113], v[104:105], -0.5, v[112:113]
	v_fma_f64 v[146:147], v[84:85], s[14:15], v[88:89]
	v_fma_f64 v[158:159], v[90:91], s[14:15], v[112:113]
	;; [unrolled: 1-line block ×5, first 2 shown]
	v_fma_f64 v[96:97], v[108:109], -0.5, v[118:119]
	v_mul_f64 v[110:111], v[114:115], s[26:27]
	v_mul_f64 v[112:113], v[114:115], s[12:13]
	v_add_f64 v[48:49], v[48:49], v[108:109]
	v_add_f64 v[50:51], v[50:51], v[104:105]
	v_fma_f64 v[84:85], v[86:87], s[22:23], v[84:85]
	v_fma_f64 v[164:165], v[72:73], s[18:19], v[90:91]
	;; [unrolled: 1-line block ×3, first 2 shown]
	v_fma_f64 v[86:87], v[104:105], -0.5, v[120:121]
	v_fma_f64 v[110:111], v[82:83], s[12:13], v[110:111]
	v_fma_f64 v[112:113], v[92:93], s[26:27], -v[112:113]
	v_fma_f64 v[48:49], v[106:107], -0.5, v[48:49]
	v_fma_f64 v[50:51], v[100:101], -0.5, v[50:51]
	v_add_f64 v[106:107], v[10:11], v[12:13]
	v_add_f64 v[120:121], v[122:123], -v[152:153]
	v_add_f64 v[122:123], v[124:125], v[78:79]
	v_mul_f64 v[12:13], v[116:117], s[4:5]
	v_fma_f64 v[84:85], v[108:109], -0.5, v[84:85]
	v_fma_f64 v[108:109], v[76:77], s[20:21], v[138:139]
	v_fma_f64 v[138:139], v[148:149], -2.0, v[62:63]
	v_fma_f64 v[148:149], v[2:3], 2.0, v[132:133]
	v_fma_f64 v[86:87], v[80:81], s[14:15], v[86:87]
	v_fma_f64 v[80:81], v[80:81], s[22:23], v[88:89]
	v_mul_f64 v[88:89], v[82:83], s[16:17]
	v_fma_f64 v[110:111], v[98:99], s[20:21], v[110:111]
	v_fma_f64 v[78:79], v[116:117], s[4:5], v[50:51]
	v_fma_f64 v[100:101], v[152:153], 2.0, v[120:121]
	v_fma_f64 v[18:19], v[18:19], s[14:15], v[84:85]
	v_add_f64 v[90:91], v[154:155], v[86:87]
	v_fma_f64 v[80:81], v[104:105], -0.5, v[80:81]
	v_fma_f64 v[88:89], v[92:93], s[12:13], v[88:89]
	v_fma_f64 v[162:163], v[92:93], s[18:19], v[110:111]
	v_add_f64 v[104:105], v[6:7], -v[14:15]
	v_fma_f64 v[110:111], v[130:131], s[4:5], v[102:103]
	v_add_f64 v[86:87], v[156:157], v[158:159]
	v_fma_f64 v[130:131], v[10:11], -2.0, v[106:107]
	v_fma_f64 v[102:103], v[124:125], -2.0, v[122:123]
	v_fma_f64 v[124:125], v[8:9], 2.0, v[108:109]
	v_fma_f64 v[50:51], v[154:155], -2.0, v[90:91]
	v_fma_f64 v[74:75], v[74:75], s[14:15], v[80:81]
	v_fma_f64 v[88:89], v[98:99], s[4:5], v[88:89]
	;; [unrolled: 1-line block ×3, first 2 shown]
	v_add_f64 v[112:113], v[94:95], -v[126:127]
	v_add_f64 v[84:85], v[146:147], -v[162:163]
	v_fma_f64 v[94:95], v[12:13], -2.0, v[78:79]
	v_add_f64 v[74:75], v[164:165], v[74:75]
	v_fma_f64 v[160:161], v[114:115], s[18:19], v[88:89]
	v_add_f64 v[88:89], v[114:115], v[82:83]
	v_fma_f64 v[98:99], v[82:83], s[18:19], v[98:99]
	v_mul_f64 v[82:83], v[150:151], s[4:5]
	v_add_f64 v[114:115], v[128:129], v[144:145]
	v_fma_f64 v[150:151], v[0:1], -2.0, v[134:135]
	v_fma_f64 v[144:145], v[16:17], 2.0, v[56:57]
	v_fma_f64 v[116:117], v[126:127], 2.0, v[112:113]
	v_fma_f64 v[126:127], v[4:5], -2.0, v[110:111]
	v_fma_f64 v[80:81], v[162:163], 2.0, v[84:85]
	v_add_f64 v[92:93], v[88:89], -v[92:93]
	v_add_f64 v[88:89], v[96:97], -v[160:161]
	v_add_f64 v[72:73], v[18:19], -v[98:99]
	v_fma_f64 v[146:147], v[82:83], -2.0, v[58:59]
	v_fma_f64 v[118:119], v[128:129], -2.0, v[114:115]
	v_fma_f64 v[128:129], v[14:15], 2.0, v[104:105]
	v_fma_f64 v[82:83], v[156:157], -2.0, v[86:87]
	v_mul_f64 v[6:7], v[92:93], s[4:5]
	v_fma_f64 v[76:77], v[92:93], s[20:21], v[48:49]
	v_fma_f64 v[48:49], v[160:161], 2.0, v[88:89]
	v_fma_f64 v[96:97], v[98:99], 2.0, v[72:73]
	v_fma_f64 v[98:99], v[164:165], -2.0, v[74:75]
	v_fma_f64 v[92:93], v[6:7], 2.0, v[76:77]
	ds_write_b128 v238, v[140:143] offset:816
	ds_write_b128 v238, v[60:63] offset:1632
	;; [unrolled: 1-line block ×26, first 2 shown]
	s_waitcnt lgkmcnt(0)
	s_barrier
	buffer_gl0_inv
	ds_read_b128 v[52:55], v238 offset:7344
	ds_read_b128 v[56:59], v238 offset:14688
	;; [unrolled: 1-line block ×4, first 2 shown]
	ds_read_b128 v[68:71], v238
	ds_read_b128 v[72:75], v238 offset:816
	ds_read_b128 v[76:79], v238 offset:8976
	;; [unrolled: 1-line block ×5, first 2 shown]
	s_clause 0x3
	buffer_load_dword v20, off, s[60:63], 0 offset:964
	buffer_load_dword v21, off, s[60:63], 0 offset:968
	;; [unrolled: 1-line block ×4, first 2 shown]
	s_waitcnt vmcnt(0) lgkmcnt(9)
	v_mul_f64 v[0:1], v[22:23], v[54:55]
	v_mul_f64 v[2:3], v[22:23], v[52:53]
	s_clause 0x3
	buffer_load_dword v22, off, s[60:63], 0 offset:1060
	buffer_load_dword v23, off, s[60:63], 0 offset:1064
	;; [unrolled: 1-line block ×4, first 2 shown]
	ds_read_b128 v[88:91], v238 offset:16320
	ds_read_b128 v[92:95], v238 offset:17136
	;; [unrolled: 1-line block ×4, first 2 shown]
	s_clause 0x3
	buffer_load_dword v28, off, s[60:63], 0 offset:1012
	buffer_load_dword v29, off, s[60:63], 0 offset:1016
	buffer_load_dword v30, off, s[60:63], 0 offset:1020
	buffer_load_dword v31, off, s[60:63], 0 offset:1024
	ds_read_b128 v[104:107], v238 offset:3264
	ds_read_b128 v[108:111], v238 offset:4080
	v_fma_f64 v[136:137], v[20:21], v[52:53], v[0:1]
	v_fma_f64 v[138:139], v[20:21], v[54:55], -v[2:3]
	s_waitcnt vmcnt(4) lgkmcnt(14)
	v_mul_f64 v[4:5], v[24:25], v[58:59]
	v_mul_f64 v[6:7], v[24:25], v[56:57]
	s_waitcnt vmcnt(0) lgkmcnt(13)
	v_mul_f64 v[8:9], v[30:31], v[62:63]
	v_mul_f64 v[10:11], v[30:31], v[60:61]
	s_clause 0x3
	buffer_load_dword v24, off, s[60:63], 0 offset:996
	buffer_load_dword v25, off, s[60:63], 0 offset:1000
	;; [unrolled: 1-line block ×4, first 2 shown]
	ds_read_b128 v[112:115], v238 offset:17952
	ds_read_b128 v[116:119], v238 offset:18768
	;; [unrolled: 1-line block ×4, first 2 shown]
	s_clause 0x3
	buffer_load_dword v30, off, s[60:63], 0 offset:1028
	buffer_load_dword v31, off, s[60:63], 0 offset:1032
	;; [unrolled: 1-line block ×4, first 2 shown]
	ds_read_b128 v[128:131], v238 offset:4896
	ds_read_b128 v[132:135], v238 offset:5712
	v_fma_f64 v[4:5], v[22:23], v[56:57], v[4:5]
	v_fma_f64 v[6:7], v[22:23], v[58:59], -v[6:7]
	v_fma_f64 v[8:9], v[28:29], v[60:61], v[8:9]
	v_fma_f64 v[10:11], v[28:29], v[62:63], -v[10:11]
	s_waitcnt vmcnt(4) lgkmcnt(18)
	v_mul_f64 v[12:13], v[26:27], v[66:67]
	v_mul_f64 v[14:15], v[26:27], v[64:65]
	s_waitcnt vmcnt(0) lgkmcnt(15)
	v_mul_f64 v[16:17], v[32:33], v[78:79]
	v_mul_f64 v[18:19], v[32:33], v[76:77]
	s_clause 0x3
	buffer_load_dword v32, off, s[60:63], 0 offset:1044
	buffer_load_dword v33, off, s[60:63], 0 offset:1048
	;; [unrolled: 1-line block ×4, first 2 shown]
	ds_read_b128 v[0:3], v238 offset:19584
	ds_read_b128 v[52:55], v238 offset:20400
	s_clause 0x3
	buffer_load_dword v20, off, s[60:63], 0 offset:980
	buffer_load_dword v21, off, s[60:63], 0 offset:984
	;; [unrolled: 1-line block ×4, first 2 shown]
	v_fma_f64 v[12:13], v[24:25], v[64:65], v[12:13]
	v_fma_f64 v[14:15], v[24:25], v[66:67], -v[14:15]
	v_fma_f64 v[76:77], v[30:31], v[76:77], v[16:17]
	v_fma_f64 v[18:19], v[30:31], v[78:79], -v[18:19]
	s_waitcnt vmcnt(4) lgkmcnt(13)
	v_mul_f64 v[140:141], v[34:35], v[90:91]
	v_mul_f64 v[142:143], v[34:35], v[88:89]
	s_clause 0x7
	buffer_load_dword v34, off, s[60:63], 0 offset:1108
	buffer_load_dword v35, off, s[60:63], 0 offset:1112
	;; [unrolled: 1-line block ×8, first 2 shown]
	s_waitcnt vmcnt(8) lgkmcnt(11)
	v_mul_f64 v[144:145], v[22:23], v[98:99]
	v_mul_f64 v[146:147], v[22:23], v[96:97]
	s_clause 0x3
	buffer_load_dword v22, off, s[60:63], 0 offset:1076
	buffer_load_dword v23, off, s[60:63], 0 offset:1080
	;; [unrolled: 1-line block ×4, first 2 shown]
	ds_read_b128 v[56:59], v238 offset:13056
	ds_read_b128 v[60:63], v238 offset:13872
	v_fma_f64 v[88:89], v[32:33], v[88:89], v[140:141]
	v_fma_f64 v[90:91], v[32:33], v[90:91], -v[142:143]
	s_waitcnt lgkmcnt(8)
	v_mul_f64 v[142:143], v[46:47], v[118:119]
	v_mul_f64 v[46:47], v[46:47], v[116:117]
	v_fma_f64 v[96:97], v[20:21], v[96:97], v[144:145]
	v_fma_f64 v[98:99], v[20:21], v[98:99], -v[146:147]
	v_fma_f64 v[116:117], v[44:45], v[116:117], v[142:143]
	v_fma_f64 v[118:119], v[44:45], v[118:119], -v[46:47]
	v_add_f64 v[44:45], v[8:9], v[12:13]
	v_add_f64 v[46:47], v[8:9], -v[12:13]
	s_waitcnt vmcnt(8)
	v_mul_f64 v[148:149], v[36:37], v[94:95]
	s_waitcnt vmcnt(4)
	v_mul_f64 v[152:153], v[28:29], v[102:103]
	v_mul_f64 v[154:155], v[28:29], v[100:101]
	s_clause 0x3
	buffer_load_dword v28, off, s[60:63], 0 offset:1124
	buffer_load_dword v29, off, s[60:63], 0 offset:1128
	;; [unrolled: 1-line block ×4, first 2 shown]
	v_mul_f64 v[150:151], v[36:37], v[92:93]
	ds_read_b128 v[64:67], v238 offset:21216
	s_clause 0x7
	buffer_load_dword v36, off, s[60:63], 0 offset:1204
	buffer_load_dword v37, off, s[60:63], 0 offset:1208
	;; [unrolled: 1-line block ×8, first 2 shown]
	s_waitcnt vmcnt(12)
	v_mul_f64 v[16:17], v[24:25], v[114:115]
	v_mul_f64 v[78:79], v[24:25], v[112:113]
	v_fma_f64 v[92:93], v[34:35], v[92:93], v[148:149]
	v_fma_f64 v[100:101], v[26:27], v[100:101], v[152:153]
	v_fma_f64 v[102:103], v[26:27], v[102:103], -v[154:155]
	v_add_f64 v[148:149], v[138:139], v[6:7]
	v_fma_f64 v[94:95], v[34:35], v[94:95], -v[150:151]
	s_clause 0x7
	buffer_load_dword v32, off, s[60:63], 0 offset:1188
	buffer_load_dword v33, off, s[60:63], 0 offset:1192
	;; [unrolled: 1-line block ×8, first 2 shown]
	v_fma_f64 v[112:113], v[22:23], v[112:113], v[16:17]
	v_fma_f64 v[78:79], v[22:23], v[114:115], -v[78:79]
	v_add_f64 v[16:17], v[136:137], v[4:5]
	v_fma_f64 v[16:17], v[16:17], -0.5, v[68:69]
	s_waitcnt vmcnt(16) lgkmcnt(8)
	v_mul_f64 v[156:157], v[30:31], v[122:123]
	v_mul_f64 v[140:141], v[30:31], v[120:121]
	s_waitcnt vmcnt(12) lgkmcnt(7)
	v_mul_f64 v[144:145], v[38:39], v[126:127]
	v_mul_f64 v[38:39], v[38:39], v[124:125]
	;; [unrolled: 3-line block ×3, first 2 shown]
	v_fma_f64 v[120:121], v[28:29], v[120:121], v[156:157]
	v_fma_f64 v[122:123], v[28:29], v[122:123], -v[140:141]
	s_clause 0x7
	buffer_load_dword v28, off, s[60:63], 0 offset:1172
	buffer_load_dword v29, off, s[60:63], 0 offset:1176
	;; [unrolled: 1-line block ×8, first 2 shown]
	s_waitcnt vmcnt(12) lgkmcnt(2)
	v_mul_f64 v[114:115], v[34:35], v[58:59]
	v_mul_f64 v[34:35], v[34:35], v[56:57]
	s_waitcnt vmcnt(8)
	v_mul_f64 v[140:141], v[26:27], v[54:55]
	v_mul_f64 v[26:27], v[26:27], v[52:53]
	v_fma_f64 v[124:125], v[36:37], v[124:125], v[144:145]
	v_fma_f64 v[126:127], v[36:37], v[126:127], -v[38:39]
	v_fma_f64 v[144:145], v[40:41], v[0:1], v[146:147]
	v_add_f64 v[0:1], v[68:69], v[136:137]
	v_add_f64 v[38:39], v[138:139], -v[6:7]
	v_fma_f64 v[146:147], v[40:41], v[2:3], -v[42:43]
	v_add_f64 v[2:3], v[10:11], v[14:15]
	v_add_f64 v[40:41], v[136:137], -v[4:5]
	v_add_f64 v[42:43], v[76:77], v[88:89]
	v_fma_f64 v[68:69], v[32:33], v[56:57], v[114:115]
	v_fma_f64 v[114:115], v[32:33], v[58:59], -v[34:35]
	v_add_f64 v[32:33], v[70:71], v[138:139]
	v_fma_f64 v[34:35], v[148:149], -0.5, v[70:71]
	v_fma_f64 v[138:139], v[24:25], v[54:55], -v[26:27]
	v_fma_f64 v[26:27], v[44:45], -0.5, v[72:73]
	v_add_f64 v[44:45], v[10:11], -v[14:15]
	v_fma_f64 v[136:137], v[24:25], v[52:53], v[140:141]
	v_add_f64 v[24:25], v[72:73], v[8:9]
	v_add_f64 v[0:1], v[0:1], v[4:5]
	v_fma_f64 v[4:5], v[38:39], s[0:1], v[16:17]
	v_add_f64 v[52:53], v[98:99], v[94:95]
	v_fma_f64 v[8:9], v[38:39], s[2:3], v[16:17]
	v_add_f64 v[38:39], v[100:101], v[112:113]
	v_fma_f64 v[42:43], v[42:43], -0.5, v[80:81]
	v_add_f64 v[54:55], v[18:19], -v[90:91]
	v_add_f64 v[58:59], v[76:77], -v[88:89]
	v_fma_f64 v[16:17], v[44:45], s[0:1], v[26:27]
	v_add_f64 v[12:13], v[24:25], v[12:13]
	v_fma_f64 v[52:53], v[52:53], -0.5, v[86:87]
	s_waitcnt vmcnt(4) lgkmcnt(1)
	v_mul_f64 v[142:143], v[30:31], v[62:63]
	v_mul_f64 v[30:31], v[30:31], v[60:61]
	s_waitcnt vmcnt(0) lgkmcnt(0)
	v_mul_f64 v[36:37], v[22:23], v[66:67]
	v_mul_f64 v[22:23], v[22:23], v[64:65]
	v_fma_f64 v[70:71], v[28:29], v[60:61], v[142:143]
	v_fma_f64 v[72:73], v[28:29], v[62:63], -v[30:31]
	v_add_f64 v[28:29], v[18:19], v[90:91]
	v_add_f64 v[30:31], v[96:97], v[92:93]
	v_fma_f64 v[140:141], v[20:21], v[64:65], v[36:37]
	v_fma_f64 v[142:143], v[20:21], v[66:67], -v[22:23]
	v_add_f64 v[22:23], v[74:75], v[10:11]
	v_fma_f64 v[36:37], v[2:3], -0.5, v[74:75]
	v_add_f64 v[2:3], v[32:33], v[6:7]
	v_fma_f64 v[6:7], v[40:41], s[2:3], v[34:35]
	v_fma_f64 v[10:11], v[40:41], s[0:1], v[34:35]
	v_add_f64 v[34:35], v[102:103], v[78:79]
	v_add_f64 v[32:33], v[80:81], v[76:77]
	;; [unrolled: 1-line block ×3, first 2 shown]
	v_fma_f64 v[20:21], v[44:45], s[2:3], v[26:27]
	v_add_f64 v[44:45], v[84:85], v[96:97]
	v_add_f64 v[64:65], v[86:87], v[98:99]
	v_add_f64 v[62:63], v[98:99], -v[94:95]
	v_add_f64 v[66:67], v[96:97], -v[92:93]
	v_add_f64 v[74:75], v[104:105], v[100:101]
	v_fma_f64 v[76:77], v[38:39], -0.5, v[104:105]
	v_add_f64 v[80:81], v[102:103], -v[78:79]
	v_add_f64 v[86:87], v[100:101], -v[112:113]
	v_add_f64 v[96:97], v[124:125], v[144:145]
	v_fma_f64 v[56:57], v[28:29], -0.5, v[82:83]
	v_fma_f64 v[60:61], v[30:31], -0.5, v[84:85]
	v_add_f64 v[82:83], v[106:107], v[102:103]
	v_fma_f64 v[28:29], v[54:55], s[0:1], v[42:43]
	v_add_f64 v[14:15], v[22:23], v[14:15]
	v_fma_f64 v[18:19], v[46:47], s[2:3], v[36:37]
	v_fma_f64 v[22:23], v[46:47], s[0:1], v[36:37]
	v_add_f64 v[98:99], v[130:131], v[126:127]
	v_add_f64 v[100:101], v[124:125], -v[144:145]
	v_fma_f64 v[84:85], v[34:35], -0.5, v[106:107]
	v_add_f64 v[24:25], v[32:33], v[88:89]
	v_add_f64 v[26:27], v[40:41], v[90:91]
	;; [unrolled: 1-line block ×8, first 2 shown]
	v_fma_f64 v[32:33], v[54:55], s[2:3], v[42:43]
	v_fma_f64 v[42:43], v[66:67], s[2:3], v[52:53]
	;; [unrolled: 1-line block ×3, first 2 shown]
	v_add_f64 v[52:53], v[74:75], v[112:113]
	v_fma_f64 v[30:31], v[58:59], s[2:3], v[56:57]
	v_fma_f64 v[34:35], v[58:59], s[0:1], v[56:57]
	;; [unrolled: 1-line block ×4, first 2 shown]
	v_add_f64 v[66:67], v[68:69], v[136:137]
	v_fma_f64 v[56:57], v[80:81], s[0:1], v[76:77]
	v_fma_f64 v[60:61], v[80:81], s[2:3], v[76:77]
	v_add_f64 v[74:75], v[114:115], v[138:139]
	v_add_f64 v[54:55], v[82:83], v[78:79]
	;; [unrolled: 1-line block ×4, first 2 shown]
	v_fma_f64 v[58:59], v[86:87], s[2:3], v[84:85]
	v_fma_f64 v[62:63], v[86:87], s[0:1], v[84:85]
	v_add_f64 v[84:85], v[110:111], v[122:123]
	v_add_f64 v[64:65], v[88:89], v[116:117]
	v_fma_f64 v[80:81], v[90:91], -0.5, v[108:109]
	v_add_f64 v[82:83], v[122:123], -v[118:119]
	v_fma_f64 v[86:87], v[92:93], -0.5, v[110:111]
	v_add_f64 v[88:89], v[120:121], -v[116:117]
	v_add_f64 v[90:91], v[128:129], v[124:125]
	v_fma_f64 v[92:93], v[96:97], -0.5, v[128:129]
	v_add_f64 v[96:97], v[126:127], -v[146:147]
	v_fma_f64 v[94:95], v[94:95], -0.5, v[130:131]
	v_add_f64 v[102:103], v[132:133], v[68:69]
	v_add_f64 v[108:109], v[134:135], v[114:115]
	v_add_f64 v[106:107], v[114:115], -v[138:139]
	v_fma_f64 v[104:105], v[66:67], -0.5, v[132:133]
	v_add_f64 v[112:113], v[68:69], -v[136:137]
	v_add_f64 v[114:115], v[48:49], v[70:71]
	v_fma_f64 v[110:111], v[74:75], -0.5, v[134:135]
	v_add_f64 v[120:121], v[72:73], -v[142:143]
	v_fma_f64 v[116:117], v[76:77], -0.5, v[48:49]
	v_add_f64 v[122:123], v[50:51], v[72:73]
	v_fma_f64 v[124:125], v[78:79], -0.5, v[50:51]
	v_add_f64 v[126:127], v[70:71], -v[140:141]
	v_add_f64 v[66:67], v[84:85], v[118:119]
	v_add_f64 v[74:75], v[98:99], v[146:147]
	v_fma_f64 v[48:49], v[82:83], s[0:1], v[80:81]
	v_fma_f64 v[68:69], v[82:83], s[2:3], v[80:81]
	;; [unrolled: 1-line block ×4, first 2 shown]
	v_add_f64 v[72:73], v[90:91], v[144:145]
	v_fma_f64 v[76:77], v[96:97], s[0:1], v[92:93]
	v_fma_f64 v[78:79], v[100:101], s[2:3], v[94:95]
	;; [unrolled: 1-line block ×4, first 2 shown]
	v_add_f64 v[84:85], v[102:103], v[136:137]
	v_add_f64 v[86:87], v[108:109], v[138:139]
	v_fma_f64 v[88:89], v[106:107], s[0:1], v[104:105]
	v_fma_f64 v[92:93], v[106:107], s[2:3], v[104:105]
	;; [unrolled: 1-line block ×4, first 2 shown]
	v_add_f64 v[96:97], v[114:115], v[140:141]
	v_fma_f64 v[100:101], v[120:121], s[0:1], v[116:117]
	v_fma_f64 v[104:105], v[120:121], s[2:3], v[116:117]
	v_add_f64 v[98:99], v[122:123], v[142:143]
	v_fma_f64 v[102:103], v[126:127], s[2:3], v[124:125]
	v_fma_f64 v[106:107], v[126:127], s[0:1], v[124:125]
	ds_write_b128 v238, v[0:3]
	ds_write_b128 v238, v[4:7] offset:7344
	ds_write_b128 v238, v[8:11] offset:14688
	;; [unrolled: 1-line block ×26, first 2 shown]
	s_waitcnt lgkmcnt(0)
	s_barrier
	buffer_gl0_inv
	ds_read_b128 v[0:3], v238
	ds_read_b128 v[4:7], v238 offset:1296
	s_clause 0x6
	buffer_load_dword v22, off, s[60:63], 0 offset:468
	buffer_load_dword v23, off, s[60:63], 0 offset:472
	;; [unrolled: 1-line block ×6, first 2 shown]
	buffer_load_dword v19, off, s[60:63], 0
	s_mov_b32 s2, 0xdee863a6
	s_mov_b32 s3, 0x3f47cbf1
	s_mul_hi_u32 s1, s8, 0x51
	s_waitcnt vmcnt(3) lgkmcnt(1)
	v_mul_f64 v[12:13], v[24:25], v[2:3]
	s_waitcnt vmcnt(2)
	v_mov_b32_e32 v18, v8
	s_waitcnt vmcnt(1)
	ds_read_b128 v[8:11], v238 offset:2592
	s_clause 0x3
	buffer_load_dword v36, off, s[60:63], 0 offset:428
	buffer_load_dword v37, off, s[60:63], 0 offset:432
	buffer_load_dword v38, off, s[60:63], 0 offset:436
	buffer_load_dword v39, off, s[60:63], 0 offset:440
	v_mul_f64 v[14:15], v[24:25], v[0:1]
	s_waitcnt vmcnt(4)
	v_mad_u64_u32 v[28:29], null, s8, v19, 0
	v_mad_u64_u32 v[16:17], null, s10, v18, 0
	;; [unrolled: 1-line block ×3, first 2 shown]
	v_mov_b32_e32 v18, v29
	v_fma_f64 v[12:13], v[22:23], v[0:1], v[12:13]
	v_lshlrev_b64 v[24:25], 4, v[16:17]
	v_fma_f64 v[14:15], v[22:23], v[2:3], -v[14:15]
	ds_read_b128 v[0:3], v238 offset:3888
	s_clause 0x3
	buffer_load_dword v40, off, s[60:63], 0 offset:692
	buffer_load_dword v41, off, s[60:63], 0 offset:696
	;; [unrolled: 1-line block ×4, first 2 shown]
	v_mad_u64_u32 v[22:23], null, s9, v19, v[18:19]
	ds_read_b128 v[16:19], v238 offset:5184
	v_mov_b32_e32 v29, v22
	v_lshlrev_b64 v[28:29], 4, v[28:29]
	v_mul_f64 v[12:13], v[12:13], s[2:3]
	v_mul_f64 v[14:15], v[14:15], s[2:3]
	s_waitcnt vmcnt(4) lgkmcnt(3)
	v_mul_f64 v[20:21], v[38:39], v[6:7]
	v_mul_f64 v[30:31], v[38:39], v[4:5]
	v_add_co_u32 v38, s0, s6, v24
	v_add_co_ci_u32_e64 v39, s0, s7, v25, s0
	ds_read_b128 v[24:27], v238 offset:7776
	v_add_co_u32 v38, s0, v38, v28
	v_add_co_ci_u32_e64 v39, s0, v39, v29, s0
	s_mul_i32 s0, s9, 0x51
	s_add_i32 s1, s1, s0
	s_mul_i32 s0, s8, 0x51
	s_lshl_b64 s[4:5], s[0:1], 4
	v_fma_f64 v[4:5], v[36:37], v[4:5], v[20:21]
	ds_read_b128 v[20:23], v238 offset:6480
	s_clause 0x7
	buffer_load_dword v62, off, s[60:63], 0 offset:676
	buffer_load_dword v63, off, s[60:63], 0 offset:680
	;; [unrolled: 1-line block ×8, first 2 shown]
	s_waitcnt vmcnt(8) lgkmcnt(4)
	v_mul_f64 v[32:33], v[42:43], v[10:11]
	v_mul_f64 v[34:35], v[42:43], v[8:9]
	v_fma_f64 v[6:7], v[36:37], v[6:7], -v[30:31]
	s_clause 0x3
	buffer_load_dword v52, off, s[60:63], 0 offset:628
	buffer_load_dword v53, off, s[60:63], 0 offset:632
	;; [unrolled: 1-line block ×4, first 2 shown]
	v_mul_f64 v[4:5], v[4:5], s[2:3]
	v_fma_f64 v[30:31], v[40:41], v[8:9], v[32:33]
	v_fma_f64 v[32:33], v[40:41], v[10:11], -v[34:35]
	ds_read_b128 v[8:11], v238 offset:9072
	v_mul_f64 v[6:7], v[6:7], s[2:3]
	v_mul_f64 v[28:29], v[30:31], s[2:3]
	;; [unrolled: 1-line block ×3, first 2 shown]
	s_waitcnt vmcnt(8) lgkmcnt(4)
	v_mul_f64 v[34:35], v[64:65], v[2:3]
	s_waitcnt vmcnt(4) lgkmcnt(3)
	v_mul_f64 v[40:41], v[58:59], v[18:19]
	v_mul_f64 v[42:43], v[58:59], v[16:17]
	s_clause 0x3
	buffer_load_dword v58, off, s[60:63], 0 offset:660
	buffer_load_dword v59, off, s[60:63], 0 offset:664
	;; [unrolled: 1-line block ×4, first 2 shown]
	v_mul_f64 v[36:37], v[64:65], v[0:1]
	s_waitcnt vmcnt(4) lgkmcnt(1)
	v_mul_f64 v[44:45], v[54:55], v[22:23]
	v_mul_f64 v[46:47], v[54:55], v[20:21]
	v_fma_f64 v[32:33], v[62:63], v[0:1], v[34:35]
	v_fma_f64 v[16:17], v[56:57], v[16:17], v[40:41]
	v_fma_f64 v[18:19], v[56:57], v[18:19], -v[42:43]
	v_fma_f64 v[34:35], v[62:63], v[2:3], -v[36:37]
	ds_read_b128 v[0:3], v238 offset:10368
	v_fma_f64 v[20:21], v[52:53], v[20:21], v[44:45]
	v_fma_f64 v[22:23], v[52:53], v[22:23], -v[46:47]
	v_add_co_u32 v36, s0, v38, s4
	v_add_co_ci_u32_e64 v37, s0, s5, v39, s0
	v_add_co_u32 v40, s0, v36, s4
	v_add_co_ci_u32_e64 v41, s0, s5, v37, s0
	v_mul_f64 v[16:17], v[16:17], s[2:3]
	v_mul_f64 v[18:19], v[18:19], s[2:3]
	v_mul_f64 v[20:21], v[20:21], s[2:3]
	v_mul_f64 v[22:23], v[22:23], s[2:3]
	s_waitcnt vmcnt(0)
	v_mul_f64 v[50:51], v[60:61], v[24:25]
	v_mul_f64 v[48:49], v[60:61], v[26:27]
	v_fma_f64 v[26:27], v[58:59], v[26:27], -v[50:51]
	s_clause 0x3
	buffer_load_dword v50, off, s[60:63], 0 offset:612
	buffer_load_dword v51, off, s[60:63], 0 offset:616
	;; [unrolled: 1-line block ×4, first 2 shown]
	global_store_dwordx4 v[38:39], v[12:15], off
	global_store_dwordx4 v[36:37], v[4:7], off
	;; [unrolled: 1-line block ×3, first 2 shown]
	v_fma_f64 v[24:25], v[58:59], v[24:25], v[48:49]
	ds_read_b128 v[12:15], v238 offset:11664
	s_clause 0x3
	buffer_load_dword v46, off, s[60:63], 0 offset:596
	buffer_load_dword v47, off, s[60:63], 0 offset:600
	;; [unrolled: 1-line block ×4, first 2 shown]
	v_mul_f64 v[6:7], v[34:35], s[2:3]
	v_mul_f64 v[4:5], v[32:33], s[2:3]
	v_add_co_u32 v30, s0, v40, s4
	v_add_co_ci_u32_e64 v31, s0, s5, v41, s0
	v_add_co_u32 v38, s0, v30, s4
	v_add_co_ci_u32_e64 v39, s0, s5, v31, s0
	;; [unrolled: 2-line block ×3, first 2 shown]
	v_mul_f64 v[26:27], v[26:27], s[2:3]
	v_mul_f64 v[24:25], v[24:25], s[2:3]
	s_waitcnt vmcnt(4) lgkmcnt(2)
	v_mul_f64 v[42:43], v[52:53], v[10:11]
	v_mul_f64 v[44:45], v[52:53], v[8:9]
	s_waitcnt vmcnt(0) lgkmcnt(1)
	v_mul_f64 v[28:29], v[48:49], v[2:3]
	v_mul_f64 v[32:33], v[48:49], v[0:1]
	v_fma_f64 v[34:35], v[50:51], v[8:9], v[42:43]
	v_fma_f64 v[36:37], v[50:51], v[10:11], -v[44:45]
	ds_read_b128 v[8:11], v238 offset:12960
	s_clause 0x3
	buffer_load_dword v54, off, s[60:63], 0 offset:500
	buffer_load_dword v55, off, s[60:63], 0 offset:504
	;; [unrolled: 1-line block ×4, first 2 shown]
	v_fma_f64 v[42:43], v[46:47], v[0:1], v[28:29]
	v_add_co_u32 v28, s0, v40, s4
	v_add_co_ci_u32_e64 v29, s0, s5, v41, s0
	global_store_dwordx4 v[30:31], v[4:7], off
	global_store_dwordx4 v[38:39], v[16:19], off
	v_add_co_u32 v52, s0, v28, s4
	v_fma_f64 v[44:45], v[46:47], v[2:3], -v[32:33]
	ds_read_b128 v[0:3], v238 offset:14256
	global_store_dwordx4 v[40:41], v[20:23], off
	global_store_dwordx4 v[28:29], v[24:27], off
	v_add_co_ci_u32_e64 v53, s0, s5, v29, s0
	v_mul_f64 v[4:5], v[34:35], s[2:3]
	v_mul_f64 v[6:7], v[36:37], s[2:3]
	;; [unrolled: 1-line block ×4, first 2 shown]
	s_waitcnt vmcnt(0) lgkmcnt(2)
	v_mul_f64 v[46:47], v[56:57], v[14:15]
	v_mul_f64 v[48:49], v[56:57], v[12:13]
	s_clause 0x3
	buffer_load_dword v56, off, s[60:63], 0 offset:484
	buffer_load_dword v57, off, s[60:63], 0 offset:488
	buffer_load_dword v58, off, s[60:63], 0 offset:492
	buffer_load_dword v59, off, s[60:63], 0 offset:496
	ds_read_b128 v[16:19], v238 offset:15552
	ds_read_b128 v[20:23], v238 offset:16848
	;; [unrolled: 1-line block ×5, first 2 shown]
	s_clause 0x7
	buffer_load_dword v68, off, s[60:63], 0 offset:452
	buffer_load_dword v69, off, s[60:63], 0 offset:456
	;; [unrolled: 1-line block ×8, first 2 shown]
	v_fma_f64 v[12:13], v[54:55], v[12:13], v[46:47]
	v_fma_f64 v[14:15], v[54:55], v[14:15], -v[48:49]
	v_add_co_u32 v46, s0, v52, s4
	v_add_co_ci_u32_e64 v47, s0, s5, v53, s0
	s_waitcnt vmcnt(8) lgkmcnt(6)
	v_mul_f64 v[40:41], v[58:59], v[10:11]
	v_mul_f64 v[50:51], v[58:59], v[8:9]
	s_waitcnt vmcnt(4) lgkmcnt(5)
	v_mul_f64 v[42:43], v[70:71], v[2:3]
	v_mul_f64 v[44:45], v[70:71], v[0:1]
	;; [unrolled: 3-line block ×3, first 2 shown]
	s_clause 0x7
	buffer_load_dword v70, off, s[60:63], 0 offset:516
	buffer_load_dword v71, off, s[60:63], 0 offset:520
	;; [unrolled: 1-line block ×8, first 2 shown]
	v_fma_f64 v[8:9], v[56:57], v[8:9], v[40:41]
	v_fma_f64 v[10:11], v[56:57], v[10:11], -v[50:51]
	v_fma_f64 v[16:17], v[74:75], v[16:17], v[48:49]
	v_fma_f64 v[18:19], v[74:75], v[18:19], -v[54:55]
	s_waitcnt vmcnt(4) lgkmcnt(3)
	v_mul_f64 v[40:41], v[72:73], v[22:23]
	s_waitcnt vmcnt(0) lgkmcnt(2)
	v_mul_f64 v[56:57], v[78:79], v[26:27]
	v_mul_f64 v[58:59], v[78:79], v[24:25]
	s_clause 0x3
	buffer_load_dword v78, off, s[60:63], 0 offset:564
	buffer_load_dword v79, off, s[60:63], 0 offset:568
	;; [unrolled: 1-line block ×4, first 2 shown]
	v_mul_f64 v[50:51], v[72:73], v[20:21]
	v_fma_f64 v[20:21], v[70:71], v[20:21], v[40:41]
	v_fma_f64 v[24:25], v[76:77], v[24:25], v[56:57]
	v_fma_f64 v[26:27], v[76:77], v[26:27], -v[58:59]
	v_fma_f64 v[22:23], v[70:71], v[22:23], -v[50:51]
	s_waitcnt vmcnt(0) lgkmcnt(1)
	v_mul_f64 v[60:61], v[80:81], v[30:31]
	v_mul_f64 v[62:63], v[80:81], v[28:29]
	s_clause 0x3
	buffer_load_dword v80, off, s[60:63], 0 offset:580
	buffer_load_dword v81, off, s[60:63], 0 offset:584
	;; [unrolled: 1-line block ×4, first 2 shown]
	global_store_dwordx4 v[52:53], v[4:7], off
	global_store_dwordx4 v[46:47], v[32:35], off
	v_mul_f64 v[4:5], v[12:13], s[2:3]
	v_mul_f64 v[6:7], v[14:15], s[2:3]
	v_fma_f64 v[12:13], v[68:69], v[0:1], v[42:43]
	v_fma_f64 v[14:15], v[68:69], v[2:3], -v[44:45]
	v_add_co_u32 v32, s0, v46, s4
	v_add_co_ci_u32_e64 v33, s0, s5, v47, s0
	v_mul_f64 v[0:1], v[8:9], s[2:3]
	v_mul_f64 v[2:3], v[10:11], s[2:3]
	v_fma_f64 v[28:29], v[78:79], v[28:29], v[60:61]
	v_fma_f64 v[30:31], v[78:79], v[30:31], -v[62:63]
	global_store_dwordx4 v[32:33], v[4:7], off
	v_mul_f64 v[8:9], v[12:13], s[2:3]
	v_mul_f64 v[10:11], v[14:15], s[2:3]
	;; [unrolled: 1-line block ×10, first 2 shown]
	s_waitcnt vmcnt(0) lgkmcnt(0)
	v_mul_f64 v[64:65], v[82:83], v[38:39]
	v_mul_f64 v[66:67], v[82:83], v[36:37]
	v_fma_f64 v[34:35], v[80:81], v[36:37], v[64:65]
	v_fma_f64 v[36:37], v[80:81], v[38:39], -v[66:67]
	v_add_co_u32 v38, s0, v32, s4
	v_add_co_ci_u32_e64 v39, s0, s5, v33, s0
	v_add_co_u32 v40, s0, v38, s4
	v_add_co_ci_u32_e64 v41, s0, s5, v39, s0
	global_store_dwordx4 v[38:39], v[0:3], off
	v_add_co_u32 v42, s0, v40, s4
	v_add_co_ci_u32_e64 v43, s0, s5, v41, s0
	global_store_dwordx4 v[40:41], v[8:11], off
	v_mul_f64 v[28:29], v[34:35], s[2:3]
	v_add_co_u32 v34, s0, v42, s4
	v_add_co_ci_u32_e64 v35, s0, s5, v43, s0
	v_mul_f64 v[30:31], v[36:37], s[2:3]
	v_add_co_u32 v4, s0, v34, s4
	v_add_co_ci_u32_e64 v5, s0, s5, v35, s0
	v_add_co_u32 v2, s0, v4, s4
	v_add_co_ci_u32_e64 v3, s0, s5, v5, s0
	;; [unrolled: 2-line block ×3, first 2 shown]
	global_store_dwordx4 v[42:43], v[12:15], off
	global_store_dwordx4 v[34:35], v[16:19], off
	;; [unrolled: 1-line block ×5, first 2 shown]
	s_and_b32 exec_lo, exec_lo, vcc_lo
	s_cbranch_execz .LBB0_15
; %bb.14:
	s_clause 0x1
	buffer_load_dword v2, off, s[60:63], 0 offset:412
	buffer_load_dword v3, off, s[60:63], 0 offset:416
	s_mul_i32 s0, s9, 0xffffb230
	s_sub_i32 s0, s0, s8
	s_waitcnt vmcnt(0)
	global_load_dwordx4 v[2:5], v[2:3], off offset:816
	ds_read_b128 v[6:9], v238 offset:816
	ds_read_b128 v[10:13], v238 offset:2112
	s_waitcnt vmcnt(0) lgkmcnt(1)
	v_mul_f64 v[14:15], v[8:9], v[4:5]
	v_mul_f64 v[4:5], v[6:7], v[4:5]
	v_fma_f64 v[6:7], v[6:7], v[2:3], v[14:15]
	v_fma_f64 v[4:5], v[2:3], v[8:9], -v[4:5]
	v_mul_f64 v[2:3], v[6:7], s[2:3]
	v_mul_f64 v[4:5], v[4:5], s[2:3]
	v_mad_u64_u32 v[6:7], null, 0xffffb230, s8, v[0:1]
	v_add_nc_u32_e32 v7, s0, v7
	global_store_dwordx4 v[6:7], v[2:5], off
	s_clause 0x1
	buffer_load_dword v8, off, s[60:63], 0 offset:420
	buffer_load_dword v9, off, s[60:63], 0 offset:424
	s_waitcnt vmcnt(0)
	global_load_dwordx4 v[0:3], v[8:9], off offset:64
	s_waitcnt vmcnt(0) lgkmcnt(0)
	v_mul_f64 v[4:5], v[12:13], v[2:3]
	v_mul_f64 v[2:3], v[10:11], v[2:3]
	v_fma_f64 v[4:5], v[10:11], v[0:1], v[4:5]
	v_fma_f64 v[2:3], v[0:1], v[12:13], -v[2:3]
	v_add_co_u32 v12, vcc_lo, v6, s4
	v_add_co_ci_u32_e32 v13, vcc_lo, s5, v7, vcc_lo
	v_mul_f64 v[0:1], v[4:5], s[2:3]
	v_mul_f64 v[2:3], v[2:3], s[2:3]
	global_store_dwordx4 v[12:13], v[0:3], off
	global_load_dwordx4 v[0:3], v[8:9], off offset:1360
	ds_read_b128 v[4:7], v238 offset:3408
	ds_read_b128 v[8:11], v238 offset:4704
	s_waitcnt vmcnt(0) lgkmcnt(1)
	v_mul_f64 v[14:15], v[6:7], v[2:3]
	v_mul_f64 v[2:3], v[4:5], v[2:3]
	v_fma_f64 v[4:5], v[4:5], v[0:1], v[14:15]
	v_fma_f64 v[2:3], v[0:1], v[6:7], -v[2:3]
	v_mul_f64 v[0:1], v[4:5], s[2:3]
	v_mul_f64 v[2:3], v[2:3], s[2:3]
	v_add_co_u32 v4, vcc_lo, v12, s4
	v_add_co_ci_u32_e32 v5, vcc_lo, s5, v13, vcc_lo
	v_add_co_u32 v12, vcc_lo, v4, s4
	v_add_co_ci_u32_e32 v13, vcc_lo, s5, v5, vcc_lo
	global_store_dwordx4 v[4:5], v[0:3], off
	s_clause 0x1
	buffer_load_dword v14, off, s[60:63], 0 offset:404
	buffer_load_dword v15, off, s[60:63], 0 offset:408
	s_waitcnt vmcnt(0)
	global_load_dwordx4 v[0:3], v[14:15], off offset:608
	s_waitcnt vmcnt(0) lgkmcnt(0)
	v_mul_f64 v[6:7], v[10:11], v[2:3]
	v_mul_f64 v[2:3], v[8:9], v[2:3]
	v_fma_f64 v[6:7], v[8:9], v[0:1], v[6:7]
	v_fma_f64 v[2:3], v[0:1], v[10:11], -v[2:3]
	v_mul_f64 v[0:1], v[6:7], s[2:3]
	v_mul_f64 v[2:3], v[2:3], s[2:3]
	global_store_dwordx4 v[12:13], v[0:3], off
	global_load_dwordx4 v[0:3], v[14:15], off offset:1904
	ds_read_b128 v[4:7], v238 offset:6000
	ds_read_b128 v[8:11], v238 offset:7296
	s_waitcnt vmcnt(0) lgkmcnt(1)
	v_mul_f64 v[14:15], v[6:7], v[2:3]
	v_mul_f64 v[2:3], v[4:5], v[2:3]
	v_fma_f64 v[4:5], v[4:5], v[0:1], v[14:15]
	v_fma_f64 v[2:3], v[0:1], v[6:7], -v[2:3]
	v_mul_f64 v[0:1], v[4:5], s[2:3]
	v_mul_f64 v[2:3], v[2:3], s[2:3]
	v_add_co_u32 v4, vcc_lo, v12, s4
	v_add_co_ci_u32_e32 v5, vcc_lo, s5, v13, vcc_lo
	v_add_co_u32 v12, vcc_lo, v4, s4
	v_add_co_ci_u32_e32 v13, vcc_lo, s5, v5, vcc_lo
	global_store_dwordx4 v[4:5], v[0:3], off
	s_clause 0x1
	buffer_load_dword v0, off, s[60:63], 0 offset:396
	buffer_load_dword v1, off, s[60:63], 0 offset:400
	s_waitcnt vmcnt(0)
	global_load_dwordx4 v[0:3], v[0:1], off offset:1152
	s_waitcnt vmcnt(0) lgkmcnt(0)
	v_mul_f64 v[6:7], v[10:11], v[2:3]
	v_mul_f64 v[2:3], v[8:9], v[2:3]
	v_fma_f64 v[6:7], v[8:9], v[0:1], v[6:7]
	v_fma_f64 v[2:3], v[0:1], v[10:11], -v[2:3]
	v_mul_f64 v[0:1], v[6:7], s[2:3]
	v_mul_f64 v[2:3], v[2:3], s[2:3]
	global_store_dwordx4 v[12:13], v[0:3], off
	s_clause 0x1
	buffer_load_dword v16, off, s[60:63], 0 offset:380
	buffer_load_dword v17, off, s[60:63], 0 offset:384
	s_waitcnt vmcnt(0)
	global_load_dwordx4 v[0:3], v[16:17], off offset:400
	ds_read_b128 v[4:7], v238 offset:8592
	ds_read_b128 v[8:11], v238 offset:9888
	s_waitcnt vmcnt(0) lgkmcnt(1)
	v_mul_f64 v[14:15], v[6:7], v[2:3]
	v_mul_f64 v[2:3], v[4:5], v[2:3]
	v_fma_f64 v[4:5], v[4:5], v[0:1], v[14:15]
	v_fma_f64 v[2:3], v[0:1], v[6:7], -v[2:3]
	v_mul_f64 v[0:1], v[4:5], s[2:3]
	v_mul_f64 v[2:3], v[2:3], s[2:3]
	v_add_co_u32 v4, vcc_lo, v12, s4
	v_add_co_ci_u32_e32 v5, vcc_lo, s5, v13, vcc_lo
	v_add_co_u32 v12, vcc_lo, v4, s4
	v_add_co_ci_u32_e32 v13, vcc_lo, s5, v5, vcc_lo
	global_store_dwordx4 v[4:5], v[0:3], off
	global_load_dwordx4 v[0:3], v[16:17], off offset:1696
	s_waitcnt vmcnt(0) lgkmcnt(0)
	v_mul_f64 v[6:7], v[10:11], v[2:3]
	v_mul_f64 v[2:3], v[8:9], v[2:3]
	v_fma_f64 v[6:7], v[8:9], v[0:1], v[6:7]
	v_fma_f64 v[2:3], v[0:1], v[10:11], -v[2:3]
	v_mul_f64 v[0:1], v[6:7], s[2:3]
	v_mul_f64 v[2:3], v[2:3], s[2:3]
	global_store_dwordx4 v[12:13], v[0:3], off
	s_clause 0x1
	buffer_load_dword v0, off, s[60:63], 0 offset:372
	buffer_load_dword v1, off, s[60:63], 0 offset:376
	s_waitcnt vmcnt(0)
	global_load_dwordx4 v[0:3], v[0:1], off offset:944
	ds_read_b128 v[4:7], v238 offset:11184
	ds_read_b128 v[8:11], v238 offset:12480
	s_waitcnt vmcnt(0) lgkmcnt(1)
	v_mul_f64 v[14:15], v[6:7], v[2:3]
	v_mul_f64 v[2:3], v[4:5], v[2:3]
	v_fma_f64 v[4:5], v[4:5], v[0:1], v[14:15]
	v_fma_f64 v[2:3], v[0:1], v[6:7], -v[2:3]
	v_mul_f64 v[0:1], v[4:5], s[2:3]
	v_mul_f64 v[2:3], v[2:3], s[2:3]
	v_add_co_u32 v4, vcc_lo, v12, s4
	v_add_co_ci_u32_e32 v5, vcc_lo, s5, v13, vcc_lo
	v_add_co_u32 v12, vcc_lo, v4, s4
	v_add_co_ci_u32_e32 v13, vcc_lo, s5, v5, vcc_lo
	global_store_dwordx4 v[4:5], v[0:3], off
	s_clause 0x1
	buffer_load_dword v14, off, s[60:63], 0 offset:356
	buffer_load_dword v15, off, s[60:63], 0 offset:360
	s_waitcnt vmcnt(0)
	global_load_dwordx4 v[0:3], v[14:15], off offset:192
	s_waitcnt vmcnt(0) lgkmcnt(0)
	v_mul_f64 v[6:7], v[10:11], v[2:3]
	v_mul_f64 v[2:3], v[8:9], v[2:3]
	v_fma_f64 v[6:7], v[8:9], v[0:1], v[6:7]
	v_fma_f64 v[2:3], v[0:1], v[10:11], -v[2:3]
	v_mul_f64 v[0:1], v[6:7], s[2:3]
	v_mul_f64 v[2:3], v[2:3], s[2:3]
	global_store_dwordx4 v[12:13], v[0:3], off
	global_load_dwordx4 v[0:3], v[14:15], off offset:1488
	ds_read_b128 v[4:7], v238 offset:13776
	ds_read_b128 v[8:11], v238 offset:15072
	s_waitcnt vmcnt(0) lgkmcnt(1)
	v_mul_f64 v[14:15], v[6:7], v[2:3]
	v_mul_f64 v[2:3], v[4:5], v[2:3]
	v_fma_f64 v[4:5], v[4:5], v[0:1], v[14:15]
	v_fma_f64 v[2:3], v[0:1], v[6:7], -v[2:3]
	v_mul_f64 v[0:1], v[4:5], s[2:3]
	v_mul_f64 v[2:3], v[2:3], s[2:3]
	v_add_co_u32 v4, vcc_lo, v12, s4
	v_add_co_ci_u32_e32 v5, vcc_lo, s5, v13, vcc_lo
	v_add_co_u32 v12, vcc_lo, v4, s4
	v_add_co_ci_u32_e32 v13, vcc_lo, s5, v5, vcc_lo
	global_store_dwordx4 v[4:5], v[0:3], off
	s_clause 0x1
	buffer_load_dword v14, off, s[60:63], 0 offset:348
	buffer_load_dword v15, off, s[60:63], 0 offset:352
	s_waitcnt vmcnt(0)
	global_load_dwordx4 v[0:3], v[14:15], off offset:736
	s_waitcnt vmcnt(0) lgkmcnt(0)
	v_mul_f64 v[6:7], v[10:11], v[2:3]
	v_mul_f64 v[2:3], v[8:9], v[2:3]
	v_fma_f64 v[6:7], v[8:9], v[0:1], v[6:7]
	v_fma_f64 v[2:3], v[0:1], v[10:11], -v[2:3]
	v_mul_f64 v[0:1], v[6:7], s[2:3]
	v_mul_f64 v[2:3], v[2:3], s[2:3]
	global_store_dwordx4 v[12:13], v[0:3], off
	;; [unrolled: 28-line block ×3, first 2 shown]
	s_clause 0x1
	buffer_load_dword v16, off, s[60:63], 0 offset:388
	buffer_load_dword v17, off, s[60:63], 0 offset:392
	s_waitcnt vmcnt(0)
	global_load_dwordx4 v[0:3], v[16:17], off offset:528
	ds_read_b128 v[4:7], v238 offset:18960
	ds_read_b128 v[8:11], v238 offset:20256
	s_waitcnt vmcnt(0) lgkmcnt(1)
	v_mul_f64 v[14:15], v[6:7], v[2:3]
	v_mul_f64 v[2:3], v[4:5], v[2:3]
	v_fma_f64 v[4:5], v[4:5], v[0:1], v[14:15]
	v_fma_f64 v[2:3], v[0:1], v[6:7], -v[2:3]
	v_mul_f64 v[0:1], v[4:5], s[2:3]
	v_mul_f64 v[2:3], v[2:3], s[2:3]
	v_add_co_u32 v4, vcc_lo, v12, s4
	v_add_co_ci_u32_e32 v5, vcc_lo, s5, v13, vcc_lo
	global_store_dwordx4 v[4:5], v[0:3], off
	global_load_dwordx4 v[0:3], v[16:17], off offset:1824
	s_waitcnt vmcnt(0) lgkmcnt(0)
	v_mul_f64 v[6:7], v[10:11], v[2:3]
	v_mul_f64 v[2:3], v[8:9], v[2:3]
	v_fma_f64 v[6:7], v[8:9], v[0:1], v[6:7]
	v_fma_f64 v[2:3], v[0:1], v[10:11], -v[2:3]
	v_add_co_u32 v8, vcc_lo, v4, s4
	v_add_co_ci_u32_e32 v9, vcc_lo, s5, v5, vcc_lo
	v_mul_f64 v[0:1], v[6:7], s[2:3]
	v_mul_f64 v[2:3], v[2:3], s[2:3]
	global_store_dwordx4 v[8:9], v[0:3], off
	s_clause 0x1
	buffer_load_dword v0, off, s[60:63], 0 offset:364
	buffer_load_dword v1, off, s[60:63], 0 offset:368
	ds_read_b128 v[4:7], v238 offset:21552
	s_waitcnt vmcnt(0)
	global_load_dwordx4 v[0:3], v[0:1], off offset:1072
	s_waitcnt vmcnt(0) lgkmcnt(0)
	v_mul_f64 v[10:11], v[6:7], v[2:3]
	v_mul_f64 v[2:3], v[4:5], v[2:3]
	v_fma_f64 v[4:5], v[4:5], v[0:1], v[10:11]
	v_fma_f64 v[2:3], v[0:1], v[6:7], -v[2:3]
	v_mul_f64 v[0:1], v[4:5], s[2:3]
	v_mul_f64 v[2:3], v[2:3], s[2:3]
	v_add_co_u32 v4, vcc_lo, v8, s4
	v_add_co_ci_u32_e32 v5, vcc_lo, s5, v9, vcc_lo
	global_store_dwordx4 v[4:5], v[0:3], off
.LBB0_15:
	s_endpgm
	.section	.rodata,"a",@progbits
	.p2align	6, 0x0
	.amdhsa_kernel bluestein_single_back_len1377_dim1_dp_op_CI_CI
		.amdhsa_group_segment_fixed_size 22032
		.amdhsa_private_segment_fixed_size 1452
		.amdhsa_kernarg_size 104
		.amdhsa_user_sgpr_count 6
		.amdhsa_user_sgpr_private_segment_buffer 1
		.amdhsa_user_sgpr_dispatch_ptr 0
		.amdhsa_user_sgpr_queue_ptr 0
		.amdhsa_user_sgpr_kernarg_segment_ptr 1
		.amdhsa_user_sgpr_dispatch_id 0
		.amdhsa_user_sgpr_flat_scratch_init 0
		.amdhsa_user_sgpr_private_segment_size 0
		.amdhsa_wavefront_size32 1
		.amdhsa_uses_dynamic_stack 0
		.amdhsa_system_sgpr_private_segment_wavefront_offset 1
		.amdhsa_system_sgpr_workgroup_id_x 1
		.amdhsa_system_sgpr_workgroup_id_y 0
		.amdhsa_system_sgpr_workgroup_id_z 0
		.amdhsa_system_sgpr_workgroup_info 0
		.amdhsa_system_vgpr_workitem_id 0
		.amdhsa_next_free_vgpr 256
		.amdhsa_next_free_sgpr 64
		.amdhsa_reserve_vcc 1
		.amdhsa_reserve_flat_scratch 0
		.amdhsa_float_round_mode_32 0
		.amdhsa_float_round_mode_16_64 0
		.amdhsa_float_denorm_mode_32 3
		.amdhsa_float_denorm_mode_16_64 3
		.amdhsa_dx10_clamp 1
		.amdhsa_ieee_mode 1
		.amdhsa_fp16_overflow 0
		.amdhsa_workgroup_processor_mode 1
		.amdhsa_memory_ordered 1
		.amdhsa_forward_progress 0
		.amdhsa_shared_vgpr_count 0
		.amdhsa_exception_fp_ieee_invalid_op 0
		.amdhsa_exception_fp_denorm_src 0
		.amdhsa_exception_fp_ieee_div_zero 0
		.amdhsa_exception_fp_ieee_overflow 0
		.amdhsa_exception_fp_ieee_underflow 0
		.amdhsa_exception_fp_ieee_inexact 0
		.amdhsa_exception_int_div_zero 0
	.end_amdhsa_kernel
	.text
.Lfunc_end0:
	.size	bluestein_single_back_len1377_dim1_dp_op_CI_CI, .Lfunc_end0-bluestein_single_back_len1377_dim1_dp_op_CI_CI
                                        ; -- End function
	.section	.AMDGPU.csdata,"",@progbits
; Kernel info:
; codeLenInByte = 62596
; NumSgprs: 66
; NumVgprs: 256
; ScratchSize: 1452
; MemoryBound: 0
; FloatMode: 240
; IeeeMode: 1
; LDSByteSize: 22032 bytes/workgroup (compile time only)
; SGPRBlocks: 8
; VGPRBlocks: 31
; NumSGPRsForWavesPerEU: 66
; NumVGPRsForWavesPerEU: 256
; Occupancy: 3
; WaveLimiterHint : 1
; COMPUTE_PGM_RSRC2:SCRATCH_EN: 1
; COMPUTE_PGM_RSRC2:USER_SGPR: 6
; COMPUTE_PGM_RSRC2:TRAP_HANDLER: 0
; COMPUTE_PGM_RSRC2:TGID_X_EN: 1
; COMPUTE_PGM_RSRC2:TGID_Y_EN: 0
; COMPUTE_PGM_RSRC2:TGID_Z_EN: 0
; COMPUTE_PGM_RSRC2:TIDIG_COMP_CNT: 0
	.text
	.p2alignl 6, 3214868480
	.fill 48, 4, 3214868480
	.type	__hip_cuid_6fe74376b9f58591,@object ; @__hip_cuid_6fe74376b9f58591
	.section	.bss,"aw",@nobits
	.globl	__hip_cuid_6fe74376b9f58591
__hip_cuid_6fe74376b9f58591:
	.byte	0                               ; 0x0
	.size	__hip_cuid_6fe74376b9f58591, 1

	.ident	"AMD clang version 19.0.0git (https://github.com/RadeonOpenCompute/llvm-project roc-6.4.0 25133 c7fe45cf4b819c5991fe208aaa96edf142730f1d)"
	.section	".note.GNU-stack","",@progbits
	.addrsig
	.addrsig_sym __hip_cuid_6fe74376b9f58591
	.amdgpu_metadata
---
amdhsa.kernels:
  - .args:
      - .actual_access:  read_only
        .address_space:  global
        .offset:         0
        .size:           8
        .value_kind:     global_buffer
      - .actual_access:  read_only
        .address_space:  global
        .offset:         8
        .size:           8
        .value_kind:     global_buffer
      - .actual_access:  read_only
        .address_space:  global
        .offset:         16
        .size:           8
        .value_kind:     global_buffer
      - .actual_access:  read_only
        .address_space:  global
        .offset:         24
        .size:           8
        .value_kind:     global_buffer
      - .actual_access:  read_only
        .address_space:  global
        .offset:         32
        .size:           8
        .value_kind:     global_buffer
      - .offset:         40
        .size:           8
        .value_kind:     by_value
      - .address_space:  global
        .offset:         48
        .size:           8
        .value_kind:     global_buffer
      - .address_space:  global
        .offset:         56
        .size:           8
        .value_kind:     global_buffer
      - .address_space:  global
        .offset:         64
        .size:           8
        .value_kind:     global_buffer
      - .address_space:  global
        .offset:         72
        .size:           8
        .value_kind:     global_buffer
      - .offset:         80
        .size:           4
        .value_kind:     by_value
      - .address_space:  global
        .offset:         88
        .size:           8
        .value_kind:     global_buffer
      - .address_space:  global
        .offset:         96
        .size:           8
        .value_kind:     global_buffer
    .group_segment_fixed_size: 22032
    .kernarg_segment_align: 8
    .kernarg_segment_size: 104
    .language:       OpenCL C
    .language_version:
      - 2
      - 0
    .max_flat_workgroup_size: 51
    .name:           bluestein_single_back_len1377_dim1_dp_op_CI_CI
    .private_segment_fixed_size: 1452
    .sgpr_count:     66
    .sgpr_spill_count: 0
    .symbol:         bluestein_single_back_len1377_dim1_dp_op_CI_CI.kd
    .uniform_work_group_size: 1
    .uses_dynamic_stack: false
    .vgpr_count:     256
    .vgpr_spill_count: 581
    .wavefront_size: 32
    .workgroup_processor_mode: 1
amdhsa.target:   amdgcn-amd-amdhsa--gfx1030
amdhsa.version:
  - 1
  - 2
...

	.end_amdgpu_metadata
